;; amdgpu-corpus repo=pytorch/pytorch kind=compiled arch=gfx1100 opt=O3
	.text
	.amdgcn_target "amdgcn-amd-amdhsa--gfx1100"
	.amdhsa_code_object_version 6
	.section	.text._ZN2at6native12_GLOBAL__N_143distribution_elementwise_grid_stride_kernelIdLi2EZNS0_9templates4cuda21uniform_and_transformIddPNS_17CUDAGeneratorImplEZZZNS4_13cauchy_kernelIS7_EEvRNS_18TensorIteratorBaseEddT_ENKUlvE_clEvENKUlvE_clEvEUldE_EEvSA_T1_T2_EUlP25hiprandStatePhilox4_32_10E_ZNS1_27distribution_nullary_kernelIdd15HIP_vector_typeIdLj2EES7_SJ_SE_EEvSA_SG_RKT3_T4_EUlidE_EEvlNS_15PhiloxCudaStateESF_SG_,"axG",@progbits,_ZN2at6native12_GLOBAL__N_143distribution_elementwise_grid_stride_kernelIdLi2EZNS0_9templates4cuda21uniform_and_transformIddPNS_17CUDAGeneratorImplEZZZNS4_13cauchy_kernelIS7_EEvRNS_18TensorIteratorBaseEddT_ENKUlvE_clEvENKUlvE_clEvEUldE_EEvSA_T1_T2_EUlP25hiprandStatePhilox4_32_10E_ZNS1_27distribution_nullary_kernelIdd15HIP_vector_typeIdLj2EES7_SJ_SE_EEvSA_SG_RKT3_T4_EUlidE_EEvlNS_15PhiloxCudaStateESF_SG_,comdat
	.globl	_ZN2at6native12_GLOBAL__N_143distribution_elementwise_grid_stride_kernelIdLi2EZNS0_9templates4cuda21uniform_and_transformIddPNS_17CUDAGeneratorImplEZZZNS4_13cauchy_kernelIS7_EEvRNS_18TensorIteratorBaseEddT_ENKUlvE_clEvENKUlvE_clEvEUldE_EEvSA_T1_T2_EUlP25hiprandStatePhilox4_32_10E_ZNS1_27distribution_nullary_kernelIdd15HIP_vector_typeIdLj2EES7_SJ_SE_EEvSA_SG_RKT3_T4_EUlidE_EEvlNS_15PhiloxCudaStateESF_SG_ ; -- Begin function _ZN2at6native12_GLOBAL__N_143distribution_elementwise_grid_stride_kernelIdLi2EZNS0_9templates4cuda21uniform_and_transformIddPNS_17CUDAGeneratorImplEZZZNS4_13cauchy_kernelIS7_EEvRNS_18TensorIteratorBaseEddT_ENKUlvE_clEvENKUlvE_clEvEUldE_EEvSA_T1_T2_EUlP25hiprandStatePhilox4_32_10E_ZNS1_27distribution_nullary_kernelIdd15HIP_vector_typeIdLj2EES7_SJ_SE_EEvSA_SG_RKT3_T4_EUlidE_EEvlNS_15PhiloxCudaStateESF_SG_
	.p2align	8
	.type	_ZN2at6native12_GLOBAL__N_143distribution_elementwise_grid_stride_kernelIdLi2EZNS0_9templates4cuda21uniform_and_transformIddPNS_17CUDAGeneratorImplEZZZNS4_13cauchy_kernelIS7_EEvRNS_18TensorIteratorBaseEddT_ENKUlvE_clEvENKUlvE_clEvEUldE_EEvSA_T1_T2_EUlP25hiprandStatePhilox4_32_10E_ZNS1_27distribution_nullary_kernelIdd15HIP_vector_typeIdLj2EES7_SJ_SE_EEvSA_SG_RKT3_T4_EUlidE_EEvlNS_15PhiloxCudaStateESF_SG_,@function
_ZN2at6native12_GLOBAL__N_143distribution_elementwise_grid_stride_kernelIdLi2EZNS0_9templates4cuda21uniform_and_transformIddPNS_17CUDAGeneratorImplEZZZNS4_13cauchy_kernelIS7_EEvRNS_18TensorIteratorBaseEddT_ENKUlvE_clEvENKUlvE_clEvEUldE_EEvSA_T1_T2_EUlP25hiprandStatePhilox4_32_10E_ZNS1_27distribution_nullary_kernelIdd15HIP_vector_typeIdLj2EES7_SJ_SE_EEvSA_SG_RKT3_T4_EUlidE_EEvlNS_15PhiloxCudaStateESF_SG_: ; @_ZN2at6native12_GLOBAL__N_143distribution_elementwise_grid_stride_kernelIdLi2EZNS0_9templates4cuda21uniform_and_transformIddPNS_17CUDAGeneratorImplEZZZNS4_13cauchy_kernelIS7_EEvRNS_18TensorIteratorBaseEddT_ENKUlvE_clEvENKUlvE_clEvEUldE_EEvSA_T1_T2_EUlP25hiprandStatePhilox4_32_10E_ZNS1_27distribution_nullary_kernelIdd15HIP_vector_typeIdLj2EES7_SJ_SE_EEvSA_SG_RKT3_T4_EUlidE_EEvlNS_15PhiloxCudaStateESF_SG_
; %bb.0:
	s_clause 0x2
	s_load_b64 s[8:9], s[0:1], 0x10
	s_load_b128 s[4:7], s[0:1], 0x0
	s_load_b32 s2, s[0:1], 0x20
	s_waitcnt lgkmcnt(0)
	v_dual_mov_b32 v2, s8 :: v_dual_mov_b32 v3, s9
	v_dual_mov_b32 v9, s7 :: v_dual_mov_b32 v8, s6
	s_bitcmp0_b32 s2, 0
	s_mov_b32 s2, 0
	s_cbranch_scc1 .LBB0_2
; %bb.1:
	v_dual_mov_b32 v1, s8 :: v_dual_mov_b32 v2, s9
	v_dual_mov_b32 v4, s6 :: v_dual_mov_b32 v5, s7
	s_load_b64 s[6:7], s[0:1], 0x18
	flat_load_b64 v[2:3], v[1:2]
	flat_load_b64 v[8:9], v[4:5]
	s_waitcnt vmcnt(1) lgkmcnt(0)
	v_add_co_u32 v2, vcc_lo, v2, s6
	v_add_co_ci_u32_e32 v3, vcc_lo, s7, v3, vcc_lo
.LBB0_2:
	s_clause 0x1
	s_load_b32 s3, s[0:1], 0x5c
	s_load_b32 s36, s[0:1], 0x50
	s_waitcnt lgkmcnt(0)
	s_and_b32 s14, s3, 0xffff
	s_add_u32 s6, s4, -1
	s_mul_i32 s33, s36, s14
	s_addc_u32 s3, s5, -1
	s_lshl_b32 s56, s33, 1
	s_cmp_lg_u64 s[2:3], 0
	s_cbranch_scc0 .LBB0_31
; %bb.3:
	v_cvt_f32_ubyte0_e32 v1, 0
	v_cvt_f32_u32_e32 v4, s56
	s_sub_u32 s8, 0, s56
	s_subb_u32 s9, 0, 0
	s_delay_alu instid0(VALU_DEP_1) | instskip(NEXT) | instid1(VALU_DEP_1)
	v_fmamk_f32 v1, v1, 0x4f800000, v4
	v_rcp_f32_e32 v1, v1
	s_waitcnt_depctr 0xfff
	v_mul_f32_e32 v1, 0x5f7ffffc, v1
	s_delay_alu instid0(VALU_DEP_1) | instskip(NEXT) | instid1(VALU_DEP_1)
	v_mul_f32_e32 v4, 0x2f800000, v1
	v_trunc_f32_e32 v4, v4
	s_delay_alu instid0(VALU_DEP_1) | instskip(SKIP_1) | instid1(VALU_DEP_2)
	v_fmamk_f32 v1, v4, 0xcf800000, v1
	v_cvt_u32_f32_e32 v4, v4
	v_cvt_u32_f32_e32 v1, v1
	s_delay_alu instid0(VALU_DEP_2) | instskip(NEXT) | instid1(VALU_DEP_2)
	v_readfirstlane_b32 s2, v4
	v_readfirstlane_b32 s7, v1
	s_delay_alu instid0(VALU_DEP_2) | instskip(NEXT) | instid1(VALU_DEP_1)
	s_mul_i32 s10, s8, s2
	s_mul_hi_u32 s12, s8, s7
	s_mul_i32 s11, s9, s7
	s_add_i32 s10, s12, s10
	s_mul_i32 s13, s8, s7
	s_add_i32 s10, s10, s11
	s_mul_hi_u32 s12, s7, s13
	s_mul_hi_u32 s16, s2, s13
	s_mul_i32 s11, s2, s13
	s_mul_hi_u32 s13, s7, s10
	s_mul_i32 s7, s7, s10
	s_mul_hi_u32 s17, s2, s10
	s_add_u32 s7, s12, s7
	s_addc_u32 s12, 0, s13
	s_add_u32 s7, s7, s11
	s_mul_i32 s10, s2, s10
	s_addc_u32 s7, s12, s16
	s_addc_u32 s11, s17, 0
	s_add_u32 s7, s7, s10
	s_addc_u32 s10, 0, s11
	v_add_co_u32 v1, s7, v1, s7
	s_delay_alu instid0(VALU_DEP_1) | instskip(SKIP_1) | instid1(VALU_DEP_1)
	s_cmp_lg_u32 s7, 0
	s_addc_u32 s2, s2, s10
	v_readfirstlane_b32 s7, v1
	s_mul_i32 s10, s8, s2
	s_delay_alu instid0(VALU_DEP_1)
	s_mul_hi_u32 s11, s8, s7
	s_mul_i32 s9, s9, s7
	s_add_i32 s10, s11, s10
	s_mul_i32 s8, s8, s7
	s_add_i32 s10, s10, s9
	s_mul_hi_u32 s11, s2, s8
	s_mul_i32 s12, s2, s8
	s_mul_hi_u32 s8, s7, s8
	s_mul_hi_u32 s13, s7, s10
	s_mul_i32 s7, s7, s10
	s_mul_hi_u32 s9, s2, s10
	s_add_u32 s7, s8, s7
	s_addc_u32 s8, 0, s13
	s_add_u32 s7, s7, s12
	s_mul_i32 s10, s2, s10
	s_addc_u32 s7, s8, s11
	s_addc_u32 s8, s9, 0
	s_add_u32 s7, s7, s10
	s_addc_u32 s8, 0, s8
	v_add_co_u32 v1, s7, v1, s7
	s_delay_alu instid0(VALU_DEP_1) | instskip(SKIP_2) | instid1(VALU_DEP_1)
	s_cmp_lg_u32 s7, 0
	s_addc_u32 s7, s2, s8
	s_ashr_i32 s8, s3, 31
	v_readfirstlane_b32 s10, v1
	s_add_u32 s2, s6, s8
	s_mov_b32 s9, s8
	s_addc_u32 s3, s3, s8
	s_delay_alu instid0(SALU_CYCLE_1) | instskip(NEXT) | instid1(SALU_CYCLE_1)
	s_xor_b64 s[2:3], s[2:3], s[8:9]
	s_mul_i32 s12, s2, s7
	s_mul_hi_u32 s13, s2, s10
	s_mul_hi_u32 s11, s2, s7
	;; [unrolled: 1-line block ×3, first 2 shown]
	s_mul_i32 s10, s3, s10
	s_add_u32 s12, s13, s12
	s_addc_u32 s11, 0, s11
	s_mul_hi_u32 s16, s3, s7
	s_add_u32 s10, s12, s10
	s_mul_i32 s7, s3, s7
	s_addc_u32 s10, s11, s17
	s_addc_u32 s11, s16, 0
	s_add_u32 s7, s10, s7
	s_addc_u32 s10, 0, s11
	s_mul_i32 s12, s56, s7
	s_add_u32 s11, s7, 1
	v_sub_co_u32 v1, s2, s2, s12
	s_mul_hi_u32 s12, s56, s7
	s_addc_u32 s13, s10, 0
	s_mul_i32 s16, s56, s10
	s_delay_alu instid0(VALU_DEP_1)
	v_sub_co_u32 v4, s17, v1, s56
	s_add_u32 s18, s7, 2
	s_addc_u32 s19, s10, 0
	s_add_i32 s12, s12, s16
	s_cmp_lg_u32 s2, 0
	v_readfirstlane_b32 s2, v4
	s_subb_u32 s3, s3, s12
	s_cmp_lg_u32 s17, 0
	s_subb_u32 s12, s3, 0
	s_delay_alu instid0(VALU_DEP_1) | instskip(SKIP_4) | instid1(SALU_CYCLE_1)
	s_cmp_ge_u32 s2, s56
	s_cselect_b32 s2, -1, 0
	s_cmp_eq_u32 s12, 0
	v_readfirstlane_b32 s12, v1
	s_cselect_b32 s2, s2, -1
	s_cmp_lg_u32 s2, 0
	s_cselect_b32 s2, s18, s11
	s_cselect_b32 s11, s19, s13
	s_cmp_ge_u32 s12, s56
	s_cselect_b32 s12, -1, 0
	s_cmp_eq_u32 s3, 0
	s_cselect_b32 s3, s12, -1
	s_delay_alu instid0(SALU_CYCLE_1) | instskip(SKIP_2) | instid1(SALU_CYCLE_1)
	s_cmp_lg_u32 s3, 0
	s_cselect_b32 s3, s11, s10
	s_cselect_b32 s2, s2, s7
	s_xor_b64 s[2:3], s[2:3], s[8:9]
	s_delay_alu instid0(SALU_CYCLE_1)
	s_sub_u32 s2, s2, s8
	s_subb_u32 s3, s3, s8
	s_cbranch_execnz .LBB0_5
.LBB0_4:
	v_cvt_f32_u32_e32 v1, s56
	s_sub_i32 s3, 0, s56
	s_delay_alu instid0(VALU_DEP_1) | instskip(SKIP_2) | instid1(VALU_DEP_1)
	v_rcp_iflag_f32_e32 v1, v1
	s_waitcnt_depctr 0xfff
	v_mul_f32_e32 v1, 0x4f7ffffe, v1
	v_cvt_u32_f32_e32 v1, v1
	s_delay_alu instid0(VALU_DEP_1) | instskip(NEXT) | instid1(VALU_DEP_1)
	v_readfirstlane_b32 s2, v1
	s_mul_i32 s3, s3, s2
	s_delay_alu instid0(SALU_CYCLE_1) | instskip(NEXT) | instid1(SALU_CYCLE_1)
	s_mul_hi_u32 s3, s2, s3
	s_add_i32 s2, s2, s3
	s_delay_alu instid0(SALU_CYCLE_1) | instskip(NEXT) | instid1(SALU_CYCLE_1)
	s_mul_hi_u32 s2, s6, s2
	s_mul_i32 s3, s2, s56
	s_delay_alu instid0(SALU_CYCLE_1)
	s_sub_i32 s3, s6, s3
	s_add_i32 s6, s2, 1
	s_sub_i32 s7, s3, s56
	s_cmp_ge_u32 s3, s56
	s_cselect_b32 s2, s6, s2
	s_cselect_b32 s3, s7, s3
	s_add_i32 s6, s2, 1
	s_cmp_ge_u32 s3, s56
	s_mov_b32 s3, 0
	s_cselect_b32 s2, s6, s2
.LBB0_5:
	v_mov_b32_e32 v10, 0
	s_add_u32 s2, s2, 1
	s_addc_u32 s3, s3, 0
	s_mul_hi_u32 s6, s36, s14
	s_mul_hi_u32 s7, s33, s2
	v_mov_b32_e32 v1, v10
	s_mul_i32 s3, s33, s3
	s_mul_i32 s6, s6, s2
	s_add_i32 s3, s7, s3
	s_mul_i32 s2, s33, s2
	v_mad_u64_u32 v[12:13], null, s14, s15, v[0:1]
	s_add_i32 s3, s3, s6
	s_mov_b32 s6, exec_lo
	s_lshl_b64 s[2:3], s[2:3], 1
	s_delay_alu instid0(VALU_DEP_1) | instid1(SALU_CYCLE_1)
	v_cmpx_gt_i64_e64 s[2:3], v[12:13]
	s_cbranch_execz .LBB0_30
; %bb.6:
	v_alignbit_b32 v19, v3, v2, 2
	v_mad_u64_u32 v[6:7], null, 0xcd9e8d57, v12, 0
	v_lshrrev_b32_e32 v20, 2, v3
	s_waitcnt vmcnt(0)
	v_dual_mov_b32 v11, v9 :: v_dual_add_nc_u32 v26, 0x8ff34781, v8
	v_mad_u64_u32 v[4:5], null, 0xd2511f53, v19, 0
	v_add_co_u32 v22, null, 0x9e3779b9, v8
	v_xor3_b32 v3, v8, v7, v20
	s_delay_alu instid0(VALU_DEP_4) | instskip(SKIP_2) | instid1(VALU_DEP_4)
	v_add_co_u32 v21, null, 0xbb67ae85, v11
	v_add_co_u32 v23, null, 0x3c6ef372, v8
	v_xor_b32_e32 v1, v5, v9
	v_mad_u64_u32 v[14:15], null, 0xd2511f53, v3, 0
	v_add_co_u32 v24, null, 0x76cf5d0a, v11
	s_delay_alu instid0(VALU_DEP_3) | instskip(SKIP_2) | instid1(VALU_DEP_3)
	v_xor_b32_e32 v1, v1, v13
	v_dual_mov_b32 v42, v12 :: v_dual_and_b32 v25, 3, v2
	v_add_co_u32 v28, null, 0xdaa66d2b, v8
	v_mad_u64_u32 v[16:17], null, 0xcd9e8d57, v1, 0
	v_xor3_b32 v1, v21, v15, v4
	v_add_co_u32 v29, null, 0x32370b8f, v11
	v_add_co_u32 v32, null, 0x78dde6e4, v8
	s_delay_alu instid0(VALU_DEP_3) | instskip(SKIP_3) | instid1(VALU_DEP_3)
	v_mad_u64_u32 v[3:4], null, 0xcd9e8d57, v1, 0
	v_xor3_b32 v7, v22, v17, v6
	v_add_co_u32 v33, null, 0xed9eba14, v11
	v_add_co_u32 v31, null, 0x1715609d, v8
	v_mad_u64_u32 v[5:6], null, 0xd2511f53, v7, 0
	v_xor3_b32 v4, v23, v4, v16
	v_add_co_u32 v36, null, 0xa9066899, v11
	v_add_co_u32 v34, null, 0xb54cda56, v8
	s_delay_alu instid0(VALU_DEP_3) | instskip(SKIP_3) | instid1(VALU_DEP_3)
	v_mad_u64_u32 v[1:2], null, 0xd2511f53, v4, 0
	v_xor3_b32 v14, v24, v6, v14
	v_add_co_u32 v37, null, 0x646e171e, v11
	v_add_co_u32 v30, null, 0x5384540f, v8
	v_mad_u64_u32 v[6:7], null, 0xcd9e8d57, v14, 0
	v_xor3_b32 v4, v29, v2, v5
	v_add_co_u32 v38, null, 0x1fd5c5a3, v11
	s_clause 0x1
	s_load_b64 s[6:7], s[0:1], 0x30
	s_load_b32 s37, s[0:1], 0x38
	v_add_co_u32 v35, null, 0xf1bbcdc8, v8
	s_delay_alu instid0(VALU_DEP_4) | instskip(SKIP_2) | instid1(VALU_DEP_3)
	v_xor3_b32 v7, v28, v7, v3
	v_mad_u64_u32 v[2:3], null, 0xcd9e8d57, v4, 0
	v_add_co_u32 v39, null, 0xdb3d7428, v11
	v_mad_u64_u32 v[4:5], null, 0xd2511f53, v7, 0
	s_load_b128 s[8:11], s[0:1], 0x40
	s_add_i32 s0, s15, s36
	s_delay_alu instid0(VALU_DEP_3) | instskip(SKIP_3) | instid1(VALU_DEP_4)
	v_xor3_b32 v3, v32, v3, v6
	v_add_nc_u32_e32 v27, 0x96a522ad, v9
	v_mov_b32_e32 v43, v13
	s_mov_b32 s12, 0x54442d18
	v_xor3_b32 v1, v33, v5, v1
	v_mad_u64_u32 v[5:6], null, 0xd2511f53, v3, 0
	s_mov_b32 s16, 0x6dc9c883
	s_mov_b32 s18, 0x33145c00
	s_delay_alu instid0(VALU_DEP_2) | instskip(SKIP_1) | instid1(VALU_DEP_3)
	v_mad_u64_u32 v[14:15], null, 0xcd9e8d57, v1, 0
	v_mad_u64_u32 v[16:17], null, s15, s14, v[0:1]
	v_xor3_b32 v3, v36, v6, v4
	s_mov_b32 s20, 0x252049c0
	s_mov_b32 s22, 0xa9a29f71
	;; [unrolled: 1-line block ×3, first 2 shown]
	s_delay_alu instid0(VALU_DEP_3)
	v_xor3_b32 v6, v31, v15, v2
	v_mad_u64_u32 v[1:2], null, 0xcd9e8d57, v3, 0
	s_waitcnt lgkmcnt(0)
	v_mul_lo_u32 v40, s37, v16
	s_mov_b32 s26, 0x90a8aae0
	v_mad_u64_u32 v[3:4], null, 0xd2511f53, v6, 0
	s_mov_b32 s28, 0xa6fbf144
	s_mov_b32 s30, 0xa7943acf
	s_delay_alu instid0(VALU_DEP_3) | instskip(SKIP_3) | instid1(VALU_DEP_2)
	v_xor3_b32 v2, v34, v2, v14
	s_mov_b32 s34, 0xdeb68feb
	s_mov_b32 s38, 0x15120e2c
	;; [unrolled: 1-line block ×3, first 2 shown]
	v_xor3_b32 v14, v37, v4, v5
	v_mad_u64_u32 v[4:5], null, 0xd2511f53, v2, 0
	s_mov_b32 s42, 0x2033784d
	s_mov_b32 s44, 0x9ac36ae2
	s_delay_alu instid0(VALU_DEP_2) | instskip(SKIP_2) | instid1(VALU_DEP_2)
	v_mad_u64_u32 v[6:7], null, 0xcd9e8d57, v14, 0
	s_mov_b32 s46, 0x1b451c21
	s_mov_b32 s48, 0x111185b7
	v_xor3_b32 v3, v38, v5, v3
	s_mov_b32 s50, 0x555554ee
	s_mov_b32 s57, 0
	;; [unrolled: 1-line block ×3, first 2 shown]
	s_delay_alu instid0(VALU_DEP_2) | instskip(SKIP_3) | instid1(VALU_DEP_2)
	v_xor3_b32 v5, v30, v7, v1
	v_mad_u64_u32 v[1:2], null, 0xcd9e8d57, v3, 0
	s_mov_b32 s1, 0x3ff921fb
	s_mov_b32 s15, 0x3c91a626
	v_mad_u64_u32 v[14:15], null, 0xd2511f53, v5, 0
	s_mov_b32 s17, 0x3fe45f30
	s_mov_b32 s19, 0xbc91a626
	s_delay_alu instid0(VALU_DEP_2) | instskip(NEXT) | instid1(VALU_DEP_3)
	v_xor3_b32 v5, v35, v2, v6
	v_mad_u64_u32 v[2:3], null, s0, s14, v[0:1]
	s_mul_i32 s0, s36, s37
	s_delay_alu instid0(VALU_DEP_3) | instskip(NEXT) | instid1(VALU_DEP_3)
	v_xor3_b32 v11, v39, v15, v4
	v_mad_u64_u32 v[6:7], null, 0xd2511f53, v5, 0
	s_mul_i32 s0, s0, s14
	s_mov_b32 s21, 0xb97b839a
	s_delay_alu instid0(VALU_DEP_2) | instskip(NEXT) | instid1(VALU_DEP_4)
	v_mad_u64_u32 v[4:5], null, 0xcd9e8d57, v11, 0
	v_mul_lo_u32 v41, s37, v2
	s_mov_b32 s36, 0xb58c4d95
	s_mov_b32 s23, 0xbf078809
	;; [unrolled: 1-line block ×5, first 2 shown]
	s_delay_alu instid0(VALU_DEP_2)
	v_xor3_b32 v3, v5, v1, v26
	v_xor3_b32 v5, v7, v14, v27
	s_mov_b32 s31, 0x3f21e634
	s_mov_b32 s35, 0x3f2d250f
	s_lshl_b32 s58, s0, 1
	s_mov_b32 s37, 0x3f437fd9
	s_mov_b32 s39, 0x3f57d5af
	;; [unrolled: 1-line block ×11, first 2 shown]
	s_branch .LBB0_9
.LBB0_7:                                ;   in Loop: Header=BB0_9 Depth=1
	s_or_b32 exec_lo, exec_lo, s0
	v_mul_f64 v[17:18], v[5:6], v[5:6]
	s_delay_alu instid0(VALU_DEP_2) | instskip(SKIP_3) | instid1(VALU_DEP_2)
	v_add_f64 v[44:45], v[15:16], v[15:16]
	v_cmp_class_f64_e64 s0, v[3:4], 0x1f8
	v_and_b32_e32 v7, 1, v7
	v_and_b32_e32 v4, 0x80000000, v4
	v_cmp_eq_u32_e32 vcc_lo, 0, v7
	v_fma_f64 v[46:47], v[5:6], v[5:6], -v[17:18]
	s_delay_alu instid0(VALU_DEP_1) | instskip(NEXT) | instid1(VALU_DEP_1)
	v_fma_f64 v[44:45], v[5:6], v[44:45], v[46:47]
	v_add_f64 v[17:18], v[17:18], v[44:45]
	s_delay_alu instid0(VALU_DEP_1) | instskip(NEXT) | instid1(VALU_DEP_1)
	v_fma_f64 v[44:45], v[17:18], s[24:25], s[22:23]
	v_fma_f64 v[44:45], v[17:18], v[44:45], s[26:27]
	s_delay_alu instid0(VALU_DEP_1) | instskip(NEXT) | instid1(VALU_DEP_1)
	v_fma_f64 v[44:45], v[17:18], v[44:45], s[28:29]
	v_fma_f64 v[44:45], v[17:18], v[44:45], s[30:31]
	;; [unrolled: 3-line block ×6, first 2 shown]
	s_delay_alu instid0(VALU_DEP_1) | instskip(NEXT) | instid1(VALU_DEP_1)
	v_fma_f64 v[44:45], v[17:18], v[44:45], s[50:51]
	v_mul_f64 v[17:18], v[17:18], v[44:45]
	s_delay_alu instid0(VALU_DEP_1) | instskip(NEXT) | instid1(VALU_DEP_1)
	v_mul_f64 v[44:45], v[5:6], v[17:18]
	v_add_f64 v[46:47], v[5:6], v[44:45]
	v_fma_f64 v[17:18], v[5:6], v[17:18], -v[44:45]
	s_delay_alu instid0(VALU_DEP_2) | instskip(NEXT) | instid1(VALU_DEP_2)
	v_add_f64 v[5:6], v[46:47], -v[5:6]
	v_add_f64 v[15:16], v[15:16], v[17:18]
	s_delay_alu instid0(VALU_DEP_2) | instskip(NEXT) | instid1(VALU_DEP_1)
	v_add_f64 v[5:6], v[44:45], -v[5:6]
	v_add_f64 v[5:6], v[15:16], v[5:6]
	s_delay_alu instid0(VALU_DEP_1) | instskip(NEXT) | instid1(VALU_DEP_1)
	v_add_f64 v[15:16], v[46:47], v[5:6]
	v_rcp_f64_e32 v[17:18], v[15:16]
	s_waitcnt_depctr 0xfff
	v_fma_f64 v[44:45], -v[15:16], v[17:18], 1.0
	s_delay_alu instid0(VALU_DEP_1) | instskip(NEXT) | instid1(VALU_DEP_1)
	v_fma_f64 v[17:18], v[44:45], v[17:18], v[17:18]
	v_fma_f64 v[44:45], -v[15:16], v[17:18], 1.0
	s_delay_alu instid0(VALU_DEP_1) | instskip(SKIP_1) | instid1(VALU_DEP_2)
	v_fma_f64 v[17:18], v[44:45], v[17:18], v[17:18]
	v_add_f64 v[44:45], v[15:16], -v[46:47]
	v_mul_f64 v[46:47], v[15:16], v[17:18]
	s_delay_alu instid0(VALU_DEP_2) | instskip(NEXT) | instid1(VALU_DEP_2)
	v_add_f64 v[5:6], v[5:6], -v[44:45]
	v_fma_f64 v[44:45], v[17:18], v[15:16], -v[46:47]
	s_delay_alu instid0(VALU_DEP_1) | instskip(NEXT) | instid1(VALU_DEP_1)
	v_fma_f64 v[5:6], v[17:18], v[5:6], v[44:45]
	v_add_f64 v[44:45], v[46:47], v[5:6]
	s_delay_alu instid0(VALU_DEP_1) | instskip(SKIP_1) | instid1(VALU_DEP_2)
	v_add_f64 v[48:49], -v[44:45], 1.0
	v_add_f64 v[46:47], v[44:45], -v[46:47]
	v_add_f64 v[50:51], -v[48:49], 1.0
	s_delay_alu instid0(VALU_DEP_2) | instskip(NEXT) | instid1(VALU_DEP_2)
	v_add_f64 v[5:6], v[46:47], -v[5:6]
	v_add_f64 v[44:45], v[50:51], -v[44:45]
	s_delay_alu instid0(VALU_DEP_1) | instskip(NEXT) | instid1(VALU_DEP_1)
	v_add_f64 v[5:6], v[5:6], v[44:45]
	v_add_f64 v[5:6], v[48:49], v[5:6]
	s_delay_alu instid0(VALU_DEP_1) | instskip(NEXT) | instid1(VALU_DEP_1)
	v_mul_f64 v[5:6], v[17:18], v[5:6]
	v_add_f64 v[5:6], v[17:18], v[5:6]
	s_delay_alu instid0(VALU_DEP_1) | instskip(NEXT) | instid1(VALU_DEP_2)
	v_xor_b32_e32 v3, 0x80000000, v6
	v_cndmask_b32_e32 v5, v5, v15, vcc_lo
	s_delay_alu instid0(VALU_DEP_2) | instskip(NEXT) | instid1(VALU_DEP_1)
	v_cndmask_b32_e32 v3, v3, v16, vcc_lo
	v_xor_b32_e32 v4, v3, v4
	s_delay_alu instid0(VALU_DEP_3) | instskip(SKIP_1) | instid1(VALU_DEP_3)
	v_cndmask_b32_e64 v3, 0, v5, s0
	v_add_nc_u32_e32 v5, s59, v41
	v_cndmask_b32_e64 v4, 0x7ff80000, v4, s0
	s_delay_alu instid0(VALU_DEP_2) | instskip(SKIP_1) | instid1(VALU_DEP_3)
	v_ashrrev_i32_e32 v6, 31, v5
	v_add_co_u32 v5, vcc_lo, s6, v5
	v_fma_f64 v[3:4], s[10:11], v[3:4], s[8:9]
	s_delay_alu instid0(VALU_DEP_3)
	v_add_co_ci_u32_e32 v6, vcc_lo, s7, v6, vcc_lo
	global_store_b64 v[5:6], v[3:4], off
.LBB0_8:                                ;   in Loop: Header=BB0_9 Depth=1
	s_or_b32 exec_lo, exec_lo, s60
	v_add_co_u32 v12, vcc_lo, v12, s56
	v_add_co_ci_u32_e32 v13, vcc_lo, 0, v13, vcc_lo
	v_mov_b32_e32 v3, v14
	s_add_i32 s59, s59, s58
	s_waitcnt_vscnt null, 0x0
	s_delay_alu instid0(VALU_DEP_2)
	v_cmp_le_i64_e32 vcc_lo, s[2:3], v[12:13]
	s_barrier
	v_mov_b32_e32 v6, v3
	v_dual_mov_b32 v5, v2 :: v_dual_mov_b32 v4, v1
	v_mov_b32_e32 v3, v0
	s_or_b32 s57, vcc_lo, s57
	buffer_gl0_inv
	s_and_not1_b32 exec_lo, exec_lo, s57
	s_cbranch_execz .LBB0_30
.LBB0_9:                                ; =>This Inner Loop Header: Depth=1
	v_add_co_u32 v19, vcc_lo, v19, 1
	s_delay_alu instid0(VALU_DEP_1) | instskip(SKIP_2) | instid1(VALU_DEP_1)
	v_cndmask_b32_e64 v0, 0, 1, vcc_lo
	v_add_co_ci_u32_e32 v20, vcc_lo, 0, v20, vcc_lo
	s_mov_b32 s0, exec_lo
	v_cmp_eq_u32_e32 vcc_lo, 0, v20
	s_delay_alu instid0(VALU_DEP_3) | instskip(NEXT) | instid1(VALU_DEP_1)
	v_cndmask_b32_e32 v0, 0, v0, vcc_lo
	v_add_nc_u32_e32 v42, v0, v42
	s_delay_alu instid0(VALU_DEP_1) | instskip(SKIP_2) | instid1(VALU_DEP_2)
	v_cmp_eq_u32_e32 vcc_lo, 0, v42
	v_mad_u64_u32 v[14:15], null, 0xcd9e8d57, v42, 0
	v_cndmask_b32_e32 v0, 0, v0, vcc_lo
	v_xor3_b32 v7, v15, v8, v20
	s_delay_alu instid0(VALU_DEP_2) | instskip(SKIP_1) | instid1(VALU_DEP_1)
	v_add_nc_u32_e32 v43, v0, v43
	v_mad_u64_u32 v[0:1], null, 0xd2511f53, v19, 0
	v_xor_b32_e32 v1, v1, v9
	s_delay_alu instid0(VALU_DEP_1) | instskip(SKIP_1) | instid1(VALU_DEP_2)
	v_xor_b32_e32 v11, v43, v1
	v_mad_u64_u32 v[1:2], null, 0xd2511f53, v7, 0
	v_mad_u64_u32 v[15:16], null, 0xcd9e8d57, v11, 0
	s_delay_alu instid0(VALU_DEP_2) | instskip(NEXT) | instid1(VALU_DEP_2)
	v_xor3_b32 v0, v21, v2, v0
	v_xor3_b32 v2, v22, v16, v14
	s_delay_alu instid0(VALU_DEP_2) | instskip(NEXT) | instid1(VALU_DEP_2)
	v_mad_u64_u32 v[16:17], null, 0xcd9e8d57, v0, 0
	v_mad_u64_u32 v[44:45], null, 0xd2511f53, v2, 0
	s_delay_alu instid0(VALU_DEP_2) | instskip(NEXT) | instid1(VALU_DEP_2)
	v_xor3_b32 v2, v23, v17, v15
	v_xor3_b32 v7, v24, v45, v1
	s_delay_alu instid0(VALU_DEP_2) | instskip(NEXT) | instid1(VALU_DEP_2)
	;; [unrolled: 6-line block ×8, first 2 shown]
	v_mad_u64_u32 v[14:15], null, 0xd2511f53, v0, 0
	v_mad_u64_u32 v[1:2], null, 0xcd9e8d57, v7, 0
	s_delay_alu instid0(VALU_DEP_2) | instskip(NEXT) | instid1(VALU_DEP_2)
	v_xor3_b32 v7, v15, v44, v27
	v_xor3_b32 v0, v2, v16, v26
	s_delay_alu instid0(VALU_DEP_2)
	v_mov_b32_e32 v2, v7
	v_cmpx_lt_i32_e32 1, v25
	s_xor_b32 s0, exec_lo, s0
	s_cbranch_execnz .LBB0_12
; %bb.10:                               ;   in Loop: Header=BB0_9 Depth=1
	s_and_not1_saveexec_b32 s0, s0
	s_cbranch_execnz .LBB0_17
.LBB0_11:                               ;   in Loop: Header=BB0_9 Depth=1
	s_or_b32 exec_lo, exec_lo, s0
	s_delay_alu instid0(SALU_CYCLE_1)
	s_mov_b32 s60, exec_lo
	v_cmpx_gt_i64_e64 s[4:5], v[12:13]
	s_cbranch_execnz .LBB0_20
	s_branch .LBB0_25
.LBB0_12:                               ;   in Loop: Header=BB0_9 Depth=1
	s_mov_b32 s14, exec_lo
	v_cmpx_lt_i32_e32 2, v25
	s_xor_b32 s14, exec_lo, s14
; %bb.13:                               ;   in Loop: Header=BB0_9 Depth=1
	v_dual_mov_b32 v4, v6 :: v_dual_mov_b32 v5, v0
	v_mov_b32_e32 v6, v1
	s_delay_alu instid0(VALU_DEP_2) | instskip(NEXT) | instid1(VALU_DEP_3)
	v_mov_b32_e32 v3, v4
	v_mov_b32_e32 v4, v5
	s_delay_alu instid0(VALU_DEP_3)
	v_mov_b32_e32 v5, v6
	v_mov_b32_e32 v6, v7
; %bb.14:                               ;   in Loop: Header=BB0_9 Depth=1
	s_and_not1_saveexec_b32 s14, s14
; %bb.15:                               ;   in Loop: Header=BB0_9 Depth=1
	s_delay_alu instid0(VALU_DEP_1)
	v_dual_mov_b32 v3, v5 :: v_dual_mov_b32 v4, v6
	v_dual_mov_b32 v5, v0 :: v_dual_mov_b32 v6, v1
; %bb.16:                               ;   in Loop: Header=BB0_9 Depth=1
	s_or_b32 exec_lo, exec_lo, s14
	s_and_not1_saveexec_b32 s0, s0
	s_cbranch_execz .LBB0_11
.LBB0_17:                               ;   in Loop: Header=BB0_9 Depth=1
	s_mov_b32 s14, exec_lo
	v_cmpx_eq_u32_e32 1, v25
; %bb.18:                               ;   in Loop: Header=BB0_9 Depth=1
	v_dual_mov_b32 v3, v4 :: v_dual_mov_b32 v4, v5
	v_dual_mov_b32 v5, v6 :: v_dual_mov_b32 v6, v0
; %bb.19:                               ;   in Loop: Header=BB0_9 Depth=1
	s_or_b32 exec_lo, exec_lo, s14
	s_delay_alu instid0(SALU_CYCLE_1) | instskip(NEXT) | instid1(SALU_CYCLE_1)
	s_or_b32 exec_lo, exec_lo, s0
	s_mov_b32 s60, exec_lo
	v_cmpx_gt_i64_e64 s[4:5], v[12:13]
	s_cbranch_execz .LBB0_25
.LBB0_20:                               ;   in Loop: Header=BB0_9 Depth=1
	v_lshrrev_b32_e32 v4, 11, v4
	s_mov_b32 s14, exec_lo
                                        ; implicit-def: $vgpr7
                                        ; implicit-def: $vgpr17_vgpr18
	s_delay_alu instid0(VALU_DEP_1) | instskip(SKIP_1) | instid1(VALU_DEP_2)
	v_cvt_f64_u32_e32 v[15:16], v4
	v_cvt_f64_u32_e32 v[3:4], v3
	v_ldexp_f64 v[15:16], v[15:16], 32
	s_delay_alu instid0(VALU_DEP_1) | instskip(NEXT) | instid1(VALU_DEP_1)
	v_add_f64 v[3:4], v[15:16], v[3:4]
                                        ; implicit-def: $vgpr15_vgpr16
	v_fma_f64 v[3:4], 0x3ca00000, v[3:4], 0x3ca00000
	s_delay_alu instid0(VALU_DEP_1) | instskip(NEXT) | instid1(VALU_DEP_1)
	v_add_f64 v[3:4], v[3:4], -0.5
	v_mul_f64 v[3:4], v[3:4], s[12:13]
	s_delay_alu instid0(VALU_DEP_1)
	v_cmpx_ngt_f64_e64 0x41d00000, |v[3:4]|
	s_xor_b32 s14, exec_lo, s14
	s_cbranch_execz .LBB0_22
; %bb.21:                               ;   in Loop: Header=BB0_9 Depth=1
	v_ldexp_f64 v[15:16], |v[3:4]|, 0xffffff80
	v_cmp_le_f64_e64 vcc_lo, 0x7b000000, |v[3:4]|
	v_trig_preop_f64 v[17:18], |v[3:4]|, 0
	v_and_b32_e32 v7, 0x7fffffff, v4
	v_trig_preop_f64 v[44:45], |v[3:4]|, 1
	v_trig_preop_f64 v[54:55], |v[3:4]|, 2
	s_mov_b32 s53, s15
	s_delay_alu instid0(VALU_DEP_3) | instskip(SKIP_1) | instid1(VALU_DEP_1)
	v_cndmask_b32_e32 v16, v7, v16, vcc_lo
	v_cndmask_b32_e32 v15, v3, v15, vcc_lo
	v_mul_f64 v[46:47], v[17:18], v[15:16]
	v_mul_f64 v[48:49], v[44:45], v[15:16]
	s_delay_alu instid0(VALU_DEP_2) | instskip(NEXT) | instid1(VALU_DEP_2)
	v_fma_f64 v[17:18], v[17:18], v[15:16], -v[46:47]
	v_fma_f64 v[44:45], v[44:45], v[15:16], -v[48:49]
	s_delay_alu instid0(VALU_DEP_2) | instskip(NEXT) | instid1(VALU_DEP_1)
	v_add_f64 v[50:51], v[48:49], v[17:18]
	v_add_f64 v[52:53], v[50:51], -v[48:49]
	v_add_f64 v[58:59], v[46:47], v[50:51]
	s_delay_alu instid0(VALU_DEP_2) | instskip(SKIP_1) | instid1(VALU_DEP_3)
	v_add_f64 v[56:57], v[50:51], -v[52:53]
	v_add_f64 v[17:18], v[17:18], -v[52:53]
	v_ldexp_f64 v[52:53], v[58:59], -2
	v_add_f64 v[46:47], v[58:59], -v[46:47]
	s_delay_alu instid0(VALU_DEP_4) | instskip(NEXT) | instid1(VALU_DEP_3)
	v_add_f64 v[48:49], v[48:49], -v[56:57]
	v_cmp_neq_f64_e64 vcc_lo, 0x7ff00000, |v[52:53]|
	s_delay_alu instid0(VALU_DEP_3) | instskip(NEXT) | instid1(VALU_DEP_3)
	v_add_f64 v[46:47], v[50:51], -v[46:47]
	v_add_f64 v[17:18], v[17:18], v[48:49]
	v_fract_f64_e32 v[48:49], v[52:53]
	s_delay_alu instid0(VALU_DEP_1) | instskip(SKIP_1) | instid1(VALU_DEP_2)
	v_dual_cndmask_b32 v48, 0, v48 :: v_dual_cndmask_b32 v49, 0, v49
	v_mul_f64 v[60:61], v[54:55], v[15:16]
	v_ldexp_f64 v[48:49], v[48:49], 2
	s_delay_alu instid0(VALU_DEP_2) | instskip(SKIP_1) | instid1(VALU_DEP_2)
	v_add_f64 v[56:57], v[60:61], v[44:45]
	v_fma_f64 v[15:16], v[54:55], v[15:16], -v[60:61]
	v_add_f64 v[50:51], v[56:57], v[17:18]
	s_delay_alu instid0(VALU_DEP_1) | instskip(SKIP_1) | instid1(VALU_DEP_2)
	v_add_f64 v[52:53], v[46:47], v[50:51]
	v_add_f64 v[62:63], v[50:51], -v[56:57]
	v_add_f64 v[58:59], v[52:53], v[48:49]
	s_delay_alu instid0(VALU_DEP_2) | instskip(SKIP_2) | instid1(VALU_DEP_4)
	v_add_f64 v[68:69], v[50:51], -v[62:63]
	v_add_f64 v[17:18], v[17:18], -v[62:63]
	;; [unrolled: 1-line block ×3, first 2 shown]
	v_cmp_gt_f64_e32 vcc_lo, 0, v[58:59]
	v_add_f64 v[58:59], v[56:57], -v[60:61]
	s_delay_alu instid0(VALU_DEP_3) | instskip(SKIP_1) | instid1(VALU_DEP_3)
	v_add_f64 v[46:47], v[50:51], -v[46:47]
	v_cndmask_b32_e64 v11, 0, 0x40100000, vcc_lo
	v_add_f64 v[66:67], v[56:57], -v[58:59]
	v_add_f64 v[44:45], v[44:45], -v[58:59]
	;; [unrolled: 1-line block ×3, first 2 shown]
	s_delay_alu instid0(VALU_DEP_4) | instskip(NEXT) | instid1(VALU_DEP_4)
	v_add_f64 v[48:49], v[48:49], v[10:11]
	v_add_f64 v[58:59], v[60:61], -v[66:67]
	s_delay_alu instid0(VALU_DEP_3) | instskip(NEXT) | instid1(VALU_DEP_3)
	v_add_f64 v[17:18], v[17:18], v[56:57]
	v_add_f64 v[64:65], v[52:53], v[48:49]
	s_delay_alu instid0(VALU_DEP_3) | instskip(NEXT) | instid1(VALU_DEP_2)
	v_add_f64 v[44:45], v[44:45], v[58:59]
	v_cvt_i32_f64_e32 v7, v[64:65]
	s_delay_alu instid0(VALU_DEP_2) | instskip(NEXT) | instid1(VALU_DEP_2)
	v_add_f64 v[17:18], v[44:45], v[17:18]
	v_cvt_f64_i32_e32 v[62:63], v7
	s_delay_alu instid0(VALU_DEP_2) | instskip(NEXT) | instid1(VALU_DEP_2)
	v_add_f64 v[15:16], v[15:16], v[17:18]
	v_add_f64 v[48:49], v[48:49], -v[62:63]
	s_delay_alu instid0(VALU_DEP_2) | instskip(NEXT) | instid1(VALU_DEP_2)
	v_add_f64 v[15:16], v[46:47], v[15:16]
	v_add_f64 v[44:45], v[52:53], v[48:49]
	s_delay_alu instid0(VALU_DEP_1) | instskip(SKIP_1) | instid1(VALU_DEP_2)
	v_add_f64 v[17:18], v[44:45], -v[48:49]
	v_cmp_le_f64_e32 vcc_lo, 0.5, v[44:45]
	v_add_f64 v[17:18], v[52:53], -v[17:18]
	v_cndmask_b32_e64 v11, 0, 0x3ff00000, vcc_lo
	v_add_co_ci_u32_e64 v7, s0, 0, v7, vcc_lo
	s_mov_b32 s0, s12
	s_delay_alu instid0(VALU_DEP_3) | instskip(NEXT) | instid1(VALU_DEP_3)
	v_add_f64 v[15:16], v[15:16], v[17:18]
	v_add_f64 v[17:18], v[44:45], -v[10:11]
	s_delay_alu instid0(VALU_DEP_1) | instskip(NEXT) | instid1(VALU_DEP_1)
	v_add_f64 v[44:45], v[17:18], v[15:16]
	v_mul_f64 v[46:47], v[44:45], s[0:1]
	v_add_f64 v[17:18], v[44:45], -v[17:18]
	s_delay_alu instid0(VALU_DEP_2) | instskip(NEXT) | instid1(VALU_DEP_2)
	v_fma_f64 v[48:49], v[44:45], s[0:1], -v[46:47]
	v_add_f64 v[15:16], v[15:16], -v[17:18]
	s_delay_alu instid0(VALU_DEP_2) | instskip(NEXT) | instid1(VALU_DEP_1)
	v_fma_f64 v[17:18], v[44:45], s[52:53], v[48:49]
	v_fma_f64 v[17:18], v[15:16], s[0:1], v[17:18]
	s_delay_alu instid0(VALU_DEP_1) | instskip(NEXT) | instid1(VALU_DEP_1)
	v_add_f64 v[15:16], v[46:47], v[17:18]
	v_add_f64 v[44:45], v[15:16], -v[46:47]
	s_delay_alu instid0(VALU_DEP_1)
	v_add_f64 v[17:18], v[17:18], -v[44:45]
.LBB0_22:                               ;   in Loop: Header=BB0_9 Depth=1
	s_and_not1_saveexec_b32 s0, s14
	s_cbranch_execz .LBB0_24
; %bb.23:                               ;   in Loop: Header=BB0_9 Depth=1
	v_mul_f64 v[15:16], |v[3:4]|, s[16:17]
	s_mov_b32 s54, s12
	s_mov_b32 s14, s18
	s_delay_alu instid0(VALU_DEP_1) | instskip(NEXT) | instid1(VALU_DEP_1)
	v_rndne_f64_e32 v[44:45], v[15:16]
	v_fma_f64 v[15:16], v[44:45], s[54:55], |v[3:4]|
	v_mul_f64 v[17:18], v[44:45], s[18:19]
	v_cvt_i32_f64_e32 v7, v[44:45]
	s_delay_alu instid0(VALU_DEP_3) | instskip(NEXT) | instid1(VALU_DEP_3)
	v_fma_f64 v[48:49], v[44:45], s[18:19], v[15:16]
	v_add_f64 v[46:47], v[15:16], v[17:18]
	s_delay_alu instid0(VALU_DEP_1) | instskip(NEXT) | instid1(VALU_DEP_3)
	v_add_f64 v[15:16], v[15:16], -v[46:47]
	v_add_f64 v[46:47], v[46:47], -v[48:49]
	s_delay_alu instid0(VALU_DEP_2) | instskip(SKIP_1) | instid1(VALU_DEP_2)
	v_add_f64 v[15:16], v[15:16], v[17:18]
	v_fma_f64 v[17:18], v[44:45], s[14:15], v[17:18]
	v_add_f64 v[15:16], v[46:47], v[15:16]
	s_delay_alu instid0(VALU_DEP_1) | instskip(NEXT) | instid1(VALU_DEP_1)
	v_add_f64 v[15:16], v[15:16], -v[17:18]
	v_fma_f64 v[17:18], v[44:45], s[20:21], v[15:16]
	s_delay_alu instid0(VALU_DEP_1) | instskip(NEXT) | instid1(VALU_DEP_1)
	v_add_f64 v[15:16], v[48:49], v[17:18]
	v_add_f64 v[46:47], v[15:16], -v[48:49]
	s_delay_alu instid0(VALU_DEP_1)
	v_add_f64 v[17:18], v[17:18], -v[46:47]
.LBB0_24:                               ;   in Loop: Header=BB0_9 Depth=1
	s_or_b32 exec_lo, exec_lo, s0
	v_mul_f64 v[44:45], v[15:16], v[15:16]
	s_delay_alu instid0(VALU_DEP_2) | instskip(SKIP_3) | instid1(VALU_DEP_2)
	v_add_f64 v[46:47], v[17:18], v[17:18]
	v_cmp_class_f64_e64 s0, v[3:4], 0x1f8
	v_and_b32_e32 v7, 1, v7
	v_and_b32_e32 v4, 0x80000000, v4
	v_cmp_eq_u32_e32 vcc_lo, 0, v7
	v_fma_f64 v[48:49], v[15:16], v[15:16], -v[44:45]
	s_delay_alu instid0(VALU_DEP_1) | instskip(NEXT) | instid1(VALU_DEP_1)
	v_fma_f64 v[46:47], v[15:16], v[46:47], v[48:49]
	v_add_f64 v[44:45], v[44:45], v[46:47]
	s_delay_alu instid0(VALU_DEP_1) | instskip(NEXT) | instid1(VALU_DEP_1)
	v_fma_f64 v[46:47], v[44:45], s[24:25], s[22:23]
	v_fma_f64 v[46:47], v[44:45], v[46:47], s[26:27]
	s_delay_alu instid0(VALU_DEP_1) | instskip(NEXT) | instid1(VALU_DEP_1)
	v_fma_f64 v[46:47], v[44:45], v[46:47], s[28:29]
	v_fma_f64 v[46:47], v[44:45], v[46:47], s[30:31]
	;; [unrolled: 3-line block ×6, first 2 shown]
	s_delay_alu instid0(VALU_DEP_1) | instskip(NEXT) | instid1(VALU_DEP_1)
	v_fma_f64 v[46:47], v[44:45], v[46:47], s[50:51]
	v_mul_f64 v[44:45], v[44:45], v[46:47]
	s_delay_alu instid0(VALU_DEP_1) | instskip(NEXT) | instid1(VALU_DEP_1)
	v_mul_f64 v[46:47], v[15:16], v[44:45]
	v_add_f64 v[48:49], v[15:16], v[46:47]
	v_fma_f64 v[44:45], v[15:16], v[44:45], -v[46:47]
	s_delay_alu instid0(VALU_DEP_2) | instskip(NEXT) | instid1(VALU_DEP_2)
	v_add_f64 v[15:16], v[48:49], -v[15:16]
	v_add_f64 v[17:18], v[17:18], v[44:45]
	s_delay_alu instid0(VALU_DEP_2) | instskip(NEXT) | instid1(VALU_DEP_1)
	v_add_f64 v[15:16], v[46:47], -v[15:16]
	v_add_f64 v[15:16], v[17:18], v[15:16]
	s_delay_alu instid0(VALU_DEP_1) | instskip(NEXT) | instid1(VALU_DEP_1)
	v_add_f64 v[17:18], v[48:49], v[15:16]
	v_rcp_f64_e32 v[44:45], v[17:18]
	s_waitcnt_depctr 0xfff
	v_fma_f64 v[46:47], -v[17:18], v[44:45], 1.0
	s_delay_alu instid0(VALU_DEP_1) | instskip(NEXT) | instid1(VALU_DEP_1)
	v_fma_f64 v[44:45], v[46:47], v[44:45], v[44:45]
	v_fma_f64 v[46:47], -v[17:18], v[44:45], 1.0
	s_delay_alu instid0(VALU_DEP_1) | instskip(SKIP_1) | instid1(VALU_DEP_2)
	v_fma_f64 v[44:45], v[46:47], v[44:45], v[44:45]
	v_add_f64 v[46:47], v[17:18], -v[48:49]
	v_mul_f64 v[48:49], v[17:18], v[44:45]
	s_delay_alu instid0(VALU_DEP_2) | instskip(NEXT) | instid1(VALU_DEP_2)
	v_add_f64 v[15:16], v[15:16], -v[46:47]
	v_fma_f64 v[46:47], v[44:45], v[17:18], -v[48:49]
	s_delay_alu instid0(VALU_DEP_1) | instskip(NEXT) | instid1(VALU_DEP_1)
	v_fma_f64 v[15:16], v[44:45], v[15:16], v[46:47]
	v_add_f64 v[46:47], v[48:49], v[15:16]
	s_delay_alu instid0(VALU_DEP_1) | instskip(SKIP_1) | instid1(VALU_DEP_2)
	v_add_f64 v[50:51], -v[46:47], 1.0
	v_add_f64 v[48:49], v[46:47], -v[48:49]
	v_add_f64 v[52:53], -v[50:51], 1.0
	s_delay_alu instid0(VALU_DEP_2) | instskip(NEXT) | instid1(VALU_DEP_2)
	v_add_f64 v[15:16], v[48:49], -v[15:16]
	v_add_f64 v[46:47], v[52:53], -v[46:47]
	s_delay_alu instid0(VALU_DEP_1) | instskip(NEXT) | instid1(VALU_DEP_1)
	v_add_f64 v[15:16], v[15:16], v[46:47]
	v_add_f64 v[15:16], v[50:51], v[15:16]
	s_delay_alu instid0(VALU_DEP_1) | instskip(NEXT) | instid1(VALU_DEP_1)
	v_mul_f64 v[15:16], v[44:45], v[15:16]
	v_add_f64 v[15:16], v[44:45], v[15:16]
	s_delay_alu instid0(VALU_DEP_1) | instskip(NEXT) | instid1(VALU_DEP_2)
	v_xor_b32_e32 v3, 0x80000000, v16
	v_cndmask_b32_e32 v7, v15, v17, vcc_lo
	s_delay_alu instid0(VALU_DEP_2) | instskip(NEXT) | instid1(VALU_DEP_1)
	v_cndmask_b32_e32 v3, v3, v18, vcc_lo
	v_xor_b32_e32 v4, v3, v4
	s_delay_alu instid0(VALU_DEP_3) | instskip(SKIP_1) | instid1(VALU_DEP_3)
	v_cndmask_b32_e64 v3, 0, v7, s0
	v_add_nc_u32_e32 v7, s59, v40
	v_cndmask_b32_e64 v4, 0x7ff80000, v4, s0
	s_delay_alu instid0(VALU_DEP_2) | instskip(SKIP_1) | instid1(VALU_DEP_3)
	v_ashrrev_i32_e32 v11, 31, v7
	v_add_co_u32 v15, vcc_lo, s6, v7
	v_fma_f64 v[3:4], s[10:11], v[3:4], s[8:9]
	s_delay_alu instid0(VALU_DEP_3)
	v_add_co_ci_u32_e32 v16, vcc_lo, s7, v11, vcc_lo
	global_store_b64 v[15:16], v[3:4], off
.LBB0_25:                               ;   in Loop: Header=BB0_9 Depth=1
	s_or_b32 exec_lo, exec_lo, s60
	v_add_co_u32 v3, vcc_lo, s33, v12
	v_add_co_ci_u32_e32 v4, vcc_lo, 0, v13, vcc_lo
	s_mov_b32 s60, exec_lo
	s_delay_alu instid0(VALU_DEP_1)
	v_cmpx_gt_i64_e64 s[4:5], v[3:4]
	s_cbranch_execz .LBB0_8
; %bb.26:                               ;   in Loop: Header=BB0_9 Depth=1
	v_lshrrev_b32_e32 v3, 11, v6
	v_cvt_f64_u32_e32 v[5:6], v5
	s_mov_b32 s14, exec_lo
                                        ; implicit-def: $vgpr7
                                        ; implicit-def: $vgpr15_vgpr16
	s_delay_alu instid0(VALU_DEP_2) | instskip(NEXT) | instid1(VALU_DEP_1)
	v_cvt_f64_u32_e32 v[3:4], v3
	v_ldexp_f64 v[3:4], v[3:4], 32
	s_delay_alu instid0(VALU_DEP_1) | instskip(NEXT) | instid1(VALU_DEP_1)
	v_add_f64 v[3:4], v[3:4], v[5:6]
                                        ; implicit-def: $vgpr5_vgpr6
	v_fma_f64 v[3:4], 0x3ca00000, v[3:4], 0x3ca00000
	s_delay_alu instid0(VALU_DEP_1) | instskip(NEXT) | instid1(VALU_DEP_1)
	v_add_f64 v[3:4], v[3:4], -0.5
	v_mul_f64 v[3:4], v[3:4], s[12:13]
	s_delay_alu instid0(VALU_DEP_1)
	v_cmpx_ngt_f64_e64 0x41d00000, |v[3:4]|
	s_xor_b32 s14, exec_lo, s14
	s_cbranch_execz .LBB0_28
; %bb.27:                               ;   in Loop: Header=BB0_9 Depth=1
	v_ldexp_f64 v[5:6], |v[3:4]|, 0xffffff80
	v_cmp_le_f64_e64 vcc_lo, 0x7b000000, |v[3:4]|
	v_trig_preop_f64 v[15:16], |v[3:4]|, 0
	v_and_b32_e32 v7, 0x7fffffff, v4
	v_trig_preop_f64 v[17:18], |v[3:4]|, 1
	v_trig_preop_f64 v[52:53], |v[3:4]|, 2
	s_mov_b32 s53, s15
	s_delay_alu instid0(VALU_DEP_3) | instskip(SKIP_1) | instid1(VALU_DEP_1)
	v_cndmask_b32_e32 v6, v7, v6, vcc_lo
	v_cndmask_b32_e32 v5, v3, v5, vcc_lo
	v_mul_f64 v[44:45], v[15:16], v[5:6]
	v_mul_f64 v[46:47], v[17:18], v[5:6]
	s_delay_alu instid0(VALU_DEP_2) | instskip(NEXT) | instid1(VALU_DEP_2)
	v_fma_f64 v[15:16], v[15:16], v[5:6], -v[44:45]
	v_fma_f64 v[17:18], v[17:18], v[5:6], -v[46:47]
	s_delay_alu instid0(VALU_DEP_2) | instskip(NEXT) | instid1(VALU_DEP_1)
	v_add_f64 v[48:49], v[46:47], v[15:16]
	v_add_f64 v[50:51], v[48:49], -v[46:47]
	v_add_f64 v[56:57], v[44:45], v[48:49]
	s_delay_alu instid0(VALU_DEP_2) | instskip(SKIP_1) | instid1(VALU_DEP_3)
	v_add_f64 v[54:55], v[48:49], -v[50:51]
	v_add_f64 v[15:16], v[15:16], -v[50:51]
	v_ldexp_f64 v[50:51], v[56:57], -2
	v_add_f64 v[44:45], v[56:57], -v[44:45]
	s_delay_alu instid0(VALU_DEP_4) | instskip(NEXT) | instid1(VALU_DEP_3)
	v_add_f64 v[46:47], v[46:47], -v[54:55]
	v_cmp_neq_f64_e64 vcc_lo, 0x7ff00000, |v[50:51]|
	s_delay_alu instid0(VALU_DEP_3) | instskip(NEXT) | instid1(VALU_DEP_3)
	v_add_f64 v[44:45], v[48:49], -v[44:45]
	v_add_f64 v[15:16], v[15:16], v[46:47]
	v_fract_f64_e32 v[46:47], v[50:51]
	s_delay_alu instid0(VALU_DEP_1) | instskip(SKIP_1) | instid1(VALU_DEP_3)
	v_cndmask_b32_e32 v47, 0, v47, vcc_lo
	v_mul_f64 v[58:59], v[52:53], v[5:6]
	v_cndmask_b32_e32 v46, 0, v46, vcc_lo
	s_delay_alu instid0(VALU_DEP_1) | instskip(NEXT) | instid1(VALU_DEP_3)
	v_ldexp_f64 v[46:47], v[46:47], 2
	v_add_f64 v[54:55], v[58:59], v[17:18]
	v_fma_f64 v[5:6], v[52:53], v[5:6], -v[58:59]
	s_delay_alu instid0(VALU_DEP_2) | instskip(NEXT) | instid1(VALU_DEP_1)
	v_add_f64 v[48:49], v[54:55], v[15:16]
	v_add_f64 v[50:51], v[44:45], v[48:49]
	v_add_f64 v[60:61], v[48:49], -v[54:55]
	s_delay_alu instid0(VALU_DEP_2) | instskip(NEXT) | instid1(VALU_DEP_2)
	v_add_f64 v[56:57], v[50:51], v[46:47]
	v_add_f64 v[66:67], v[48:49], -v[60:61]
	v_add_f64 v[15:16], v[15:16], -v[60:61]
	;; [unrolled: 1-line block ×3, first 2 shown]
	s_delay_alu instid0(VALU_DEP_4) | instskip(SKIP_1) | instid1(VALU_DEP_3)
	v_cmp_gt_f64_e32 vcc_lo, 0, v[56:57]
	v_add_f64 v[56:57], v[54:55], -v[58:59]
	v_add_f64 v[44:45], v[48:49], -v[44:45]
	v_cndmask_b32_e64 v11, 0, 0x40100000, vcc_lo
	s_delay_alu instid0(VALU_DEP_3) | instskip(SKIP_2) | instid1(VALU_DEP_4)
	v_add_f64 v[64:65], v[54:55], -v[56:57]
	v_add_f64 v[17:18], v[17:18], -v[56:57]
	;; [unrolled: 1-line block ×3, first 2 shown]
	v_add_f64 v[46:47], v[46:47], v[10:11]
	s_delay_alu instid0(VALU_DEP_4) | instskip(NEXT) | instid1(VALU_DEP_3)
	v_add_f64 v[56:57], v[58:59], -v[64:65]
	v_add_f64 v[15:16], v[15:16], v[54:55]
	s_delay_alu instid0(VALU_DEP_3) | instskip(NEXT) | instid1(VALU_DEP_3)
	v_add_f64 v[62:63], v[50:51], v[46:47]
	v_add_f64 v[17:18], v[17:18], v[56:57]
	s_delay_alu instid0(VALU_DEP_2) | instskip(NEXT) | instid1(VALU_DEP_2)
	v_cvt_i32_f64_e32 v7, v[62:63]
	v_add_f64 v[15:16], v[17:18], v[15:16]
	s_delay_alu instid0(VALU_DEP_2) | instskip(NEXT) | instid1(VALU_DEP_2)
	v_cvt_f64_i32_e32 v[60:61], v7
	v_add_f64 v[5:6], v[5:6], v[15:16]
	s_delay_alu instid0(VALU_DEP_2) | instskip(NEXT) | instid1(VALU_DEP_2)
	v_add_f64 v[46:47], v[46:47], -v[60:61]
	v_add_f64 v[5:6], v[44:45], v[5:6]
	s_delay_alu instid0(VALU_DEP_2) | instskip(NEXT) | instid1(VALU_DEP_1)
	v_add_f64 v[17:18], v[50:51], v[46:47]
	v_add_f64 v[15:16], v[17:18], -v[46:47]
	v_cmp_le_f64_e32 vcc_lo, 0.5, v[17:18]
	s_delay_alu instid0(VALU_DEP_2) | instskip(SKIP_3) | instid1(VALU_DEP_3)
	v_add_f64 v[15:16], v[50:51], -v[15:16]
	v_cndmask_b32_e64 v11, 0, 0x3ff00000, vcc_lo
	v_add_co_ci_u32_e64 v7, s0, 0, v7, vcc_lo
	s_mov_b32 s0, s12
	v_add_f64 v[5:6], v[5:6], v[15:16]
	s_delay_alu instid0(VALU_DEP_3) | instskip(NEXT) | instid1(VALU_DEP_1)
	v_add_f64 v[15:16], v[17:18], -v[10:11]
	v_add_f64 v[17:18], v[15:16], v[5:6]
	s_delay_alu instid0(VALU_DEP_1) | instskip(SKIP_1) | instid1(VALU_DEP_2)
	v_mul_f64 v[44:45], v[17:18], s[0:1]
	v_add_f64 v[15:16], v[17:18], -v[15:16]
	v_fma_f64 v[46:47], v[17:18], s[0:1], -v[44:45]
	s_delay_alu instid0(VALU_DEP_2) | instskip(NEXT) | instid1(VALU_DEP_2)
	v_add_f64 v[5:6], v[5:6], -v[15:16]
	v_fma_f64 v[15:16], v[17:18], s[52:53], v[46:47]
	s_delay_alu instid0(VALU_DEP_1) | instskip(NEXT) | instid1(VALU_DEP_1)
	v_fma_f64 v[15:16], v[5:6], s[0:1], v[15:16]
	v_add_f64 v[5:6], v[44:45], v[15:16]
	s_delay_alu instid0(VALU_DEP_1) | instskip(NEXT) | instid1(VALU_DEP_1)
	v_add_f64 v[17:18], v[5:6], -v[44:45]
	v_add_f64 v[15:16], v[15:16], -v[17:18]
.LBB0_28:                               ;   in Loop: Header=BB0_9 Depth=1
	s_and_not1_saveexec_b32 s0, s14
	s_cbranch_execz .LBB0_7
; %bb.29:                               ;   in Loop: Header=BB0_9 Depth=1
	v_mul_f64 v[5:6], |v[3:4]|, s[16:17]
	s_mov_b32 s54, s12
	s_mov_b32 s14, s18
	s_delay_alu instid0(VALU_DEP_1) | instskip(NEXT) | instid1(VALU_DEP_1)
	v_rndne_f64_e32 v[17:18], v[5:6]
	v_fma_f64 v[5:6], v[17:18], s[54:55], |v[3:4]|
	v_mul_f64 v[15:16], v[17:18], s[18:19]
	v_cvt_i32_f64_e32 v7, v[17:18]
	s_delay_alu instid0(VALU_DEP_3) | instskip(NEXT) | instid1(VALU_DEP_3)
	v_fma_f64 v[46:47], v[17:18], s[18:19], v[5:6]
	v_add_f64 v[44:45], v[5:6], v[15:16]
	s_delay_alu instid0(VALU_DEP_1) | instskip(NEXT) | instid1(VALU_DEP_3)
	v_add_f64 v[5:6], v[5:6], -v[44:45]
	v_add_f64 v[44:45], v[44:45], -v[46:47]
	s_delay_alu instid0(VALU_DEP_2) | instskip(SKIP_1) | instid1(VALU_DEP_2)
	v_add_f64 v[5:6], v[5:6], v[15:16]
	v_fma_f64 v[15:16], v[17:18], s[14:15], v[15:16]
	v_add_f64 v[5:6], v[44:45], v[5:6]
	s_delay_alu instid0(VALU_DEP_1) | instskip(NEXT) | instid1(VALU_DEP_1)
	v_add_f64 v[5:6], v[5:6], -v[15:16]
	v_fma_f64 v[15:16], v[17:18], s[20:21], v[5:6]
	s_delay_alu instid0(VALU_DEP_1) | instskip(NEXT) | instid1(VALU_DEP_1)
	v_add_f64 v[5:6], v[46:47], v[15:16]
	v_add_f64 v[44:45], v[5:6], -v[46:47]
	s_delay_alu instid0(VALU_DEP_1)
	v_add_f64 v[15:16], v[15:16], -v[44:45]
	s_branch .LBB0_7
.LBB0_30:
	s_endpgm
.LBB0_31:
                                        ; implicit-def: $sgpr2_sgpr3
	s_branch .LBB0_4
	.section	.rodata,"a",@progbits
	.p2align	6, 0x0
	.amdhsa_kernel _ZN2at6native12_GLOBAL__N_143distribution_elementwise_grid_stride_kernelIdLi2EZNS0_9templates4cuda21uniform_and_transformIddPNS_17CUDAGeneratorImplEZZZNS4_13cauchy_kernelIS7_EEvRNS_18TensorIteratorBaseEddT_ENKUlvE_clEvENKUlvE_clEvEUldE_EEvSA_T1_T2_EUlP25hiprandStatePhilox4_32_10E_ZNS1_27distribution_nullary_kernelIdd15HIP_vector_typeIdLj2EES7_SJ_SE_EEvSA_SG_RKT3_T4_EUlidE_EEvlNS_15PhiloxCudaStateESF_SG_
		.amdhsa_group_segment_fixed_size 0
		.amdhsa_private_segment_fixed_size 0
		.amdhsa_kernarg_size 336
		.amdhsa_user_sgpr_count 15
		.amdhsa_user_sgpr_dispatch_ptr 0
		.amdhsa_user_sgpr_queue_ptr 0
		.amdhsa_user_sgpr_kernarg_segment_ptr 1
		.amdhsa_user_sgpr_dispatch_id 0
		.amdhsa_user_sgpr_private_segment_size 0
		.amdhsa_wavefront_size32 1
		.amdhsa_uses_dynamic_stack 0
		.amdhsa_enable_private_segment 0
		.amdhsa_system_sgpr_workgroup_id_x 1
		.amdhsa_system_sgpr_workgroup_id_y 0
		.amdhsa_system_sgpr_workgroup_id_z 0
		.amdhsa_system_sgpr_workgroup_info 0
		.amdhsa_system_vgpr_workitem_id 0
		.amdhsa_next_free_vgpr 70
		.amdhsa_next_free_sgpr 61
		.amdhsa_reserve_vcc 1
		.amdhsa_float_round_mode_32 0
		.amdhsa_float_round_mode_16_64 0
		.amdhsa_float_denorm_mode_32 3
		.amdhsa_float_denorm_mode_16_64 3
		.amdhsa_dx10_clamp 1
		.amdhsa_ieee_mode 1
		.amdhsa_fp16_overflow 0
		.amdhsa_workgroup_processor_mode 1
		.amdhsa_memory_ordered 1
		.amdhsa_forward_progress 0
		.amdhsa_shared_vgpr_count 0
		.amdhsa_exception_fp_ieee_invalid_op 0
		.amdhsa_exception_fp_denorm_src 0
		.amdhsa_exception_fp_ieee_div_zero 0
		.amdhsa_exception_fp_ieee_overflow 0
		.amdhsa_exception_fp_ieee_underflow 0
		.amdhsa_exception_fp_ieee_inexact 0
		.amdhsa_exception_int_div_zero 0
	.end_amdhsa_kernel
	.section	.text._ZN2at6native12_GLOBAL__N_143distribution_elementwise_grid_stride_kernelIdLi2EZNS0_9templates4cuda21uniform_and_transformIddPNS_17CUDAGeneratorImplEZZZNS4_13cauchy_kernelIS7_EEvRNS_18TensorIteratorBaseEddT_ENKUlvE_clEvENKUlvE_clEvEUldE_EEvSA_T1_T2_EUlP25hiprandStatePhilox4_32_10E_ZNS1_27distribution_nullary_kernelIdd15HIP_vector_typeIdLj2EES7_SJ_SE_EEvSA_SG_RKT3_T4_EUlidE_EEvlNS_15PhiloxCudaStateESF_SG_,"axG",@progbits,_ZN2at6native12_GLOBAL__N_143distribution_elementwise_grid_stride_kernelIdLi2EZNS0_9templates4cuda21uniform_and_transformIddPNS_17CUDAGeneratorImplEZZZNS4_13cauchy_kernelIS7_EEvRNS_18TensorIteratorBaseEddT_ENKUlvE_clEvENKUlvE_clEvEUldE_EEvSA_T1_T2_EUlP25hiprandStatePhilox4_32_10E_ZNS1_27distribution_nullary_kernelIdd15HIP_vector_typeIdLj2EES7_SJ_SE_EEvSA_SG_RKT3_T4_EUlidE_EEvlNS_15PhiloxCudaStateESF_SG_,comdat
.Lfunc_end0:
	.size	_ZN2at6native12_GLOBAL__N_143distribution_elementwise_grid_stride_kernelIdLi2EZNS0_9templates4cuda21uniform_and_transformIddPNS_17CUDAGeneratorImplEZZZNS4_13cauchy_kernelIS7_EEvRNS_18TensorIteratorBaseEddT_ENKUlvE_clEvENKUlvE_clEvEUldE_EEvSA_T1_T2_EUlP25hiprandStatePhilox4_32_10E_ZNS1_27distribution_nullary_kernelIdd15HIP_vector_typeIdLj2EES7_SJ_SE_EEvSA_SG_RKT3_T4_EUlidE_EEvlNS_15PhiloxCudaStateESF_SG_, .Lfunc_end0-_ZN2at6native12_GLOBAL__N_143distribution_elementwise_grid_stride_kernelIdLi2EZNS0_9templates4cuda21uniform_and_transformIddPNS_17CUDAGeneratorImplEZZZNS4_13cauchy_kernelIS7_EEvRNS_18TensorIteratorBaseEddT_ENKUlvE_clEvENKUlvE_clEvEUldE_EEvSA_T1_T2_EUlP25hiprandStatePhilox4_32_10E_ZNS1_27distribution_nullary_kernelIdd15HIP_vector_typeIdLj2EES7_SJ_SE_EEvSA_SG_RKT3_T4_EUlidE_EEvlNS_15PhiloxCudaStateESF_SG_
                                        ; -- End function
	.section	.AMDGPU.csdata,"",@progbits
; Kernel info:
; codeLenInByte = 5928
; NumSgprs: 63
; NumVgprs: 70
; ScratchSize: 0
; MemoryBound: 0
; FloatMode: 240
; IeeeMode: 1
; LDSByteSize: 0 bytes/workgroup (compile time only)
; SGPRBlocks: 7
; VGPRBlocks: 8
; NumSGPRsForWavesPerEU: 63
; NumVGPRsForWavesPerEU: 70
; Occupancy: 16
; WaveLimiterHint : 0
; COMPUTE_PGM_RSRC2:SCRATCH_EN: 0
; COMPUTE_PGM_RSRC2:USER_SGPR: 15
; COMPUTE_PGM_RSRC2:TRAP_HANDLER: 0
; COMPUTE_PGM_RSRC2:TGID_X_EN: 1
; COMPUTE_PGM_RSRC2:TGID_Y_EN: 0
; COMPUTE_PGM_RSRC2:TGID_Z_EN: 0
; COMPUTE_PGM_RSRC2:TIDIG_COMP_CNT: 0
	.section	.text._ZN2at6native12_GLOBAL__N_143distribution_elementwise_grid_stride_kernelIdLi2EZNS0_9templates4cuda21uniform_and_transformIddPNS_17CUDAGeneratorImplEZZZNS4_13cauchy_kernelIS7_EEvRNS_18TensorIteratorBaseEddT_ENKUlvE_clEvENKUlvE_clEvEUldE_EEvSA_T1_T2_EUlP25hiprandStatePhilox4_32_10E_ZNS1_27distribution_nullary_kernelIdd15HIP_vector_typeIdLj2EES7_SJ_SE_EEvSA_SG_RKT3_T4_EUlidE0_EEvlNS_15PhiloxCudaStateESF_SG_,"axG",@progbits,_ZN2at6native12_GLOBAL__N_143distribution_elementwise_grid_stride_kernelIdLi2EZNS0_9templates4cuda21uniform_and_transformIddPNS_17CUDAGeneratorImplEZZZNS4_13cauchy_kernelIS7_EEvRNS_18TensorIteratorBaseEddT_ENKUlvE_clEvENKUlvE_clEvEUldE_EEvSA_T1_T2_EUlP25hiprandStatePhilox4_32_10E_ZNS1_27distribution_nullary_kernelIdd15HIP_vector_typeIdLj2EES7_SJ_SE_EEvSA_SG_RKT3_T4_EUlidE0_EEvlNS_15PhiloxCudaStateESF_SG_,comdat
	.globl	_ZN2at6native12_GLOBAL__N_143distribution_elementwise_grid_stride_kernelIdLi2EZNS0_9templates4cuda21uniform_and_transformIddPNS_17CUDAGeneratorImplEZZZNS4_13cauchy_kernelIS7_EEvRNS_18TensorIteratorBaseEddT_ENKUlvE_clEvENKUlvE_clEvEUldE_EEvSA_T1_T2_EUlP25hiprandStatePhilox4_32_10E_ZNS1_27distribution_nullary_kernelIdd15HIP_vector_typeIdLj2EES7_SJ_SE_EEvSA_SG_RKT3_T4_EUlidE0_EEvlNS_15PhiloxCudaStateESF_SG_ ; -- Begin function _ZN2at6native12_GLOBAL__N_143distribution_elementwise_grid_stride_kernelIdLi2EZNS0_9templates4cuda21uniform_and_transformIddPNS_17CUDAGeneratorImplEZZZNS4_13cauchy_kernelIS7_EEvRNS_18TensorIteratorBaseEddT_ENKUlvE_clEvENKUlvE_clEvEUldE_EEvSA_T1_T2_EUlP25hiprandStatePhilox4_32_10E_ZNS1_27distribution_nullary_kernelIdd15HIP_vector_typeIdLj2EES7_SJ_SE_EEvSA_SG_RKT3_T4_EUlidE0_EEvlNS_15PhiloxCudaStateESF_SG_
	.p2align	8
	.type	_ZN2at6native12_GLOBAL__N_143distribution_elementwise_grid_stride_kernelIdLi2EZNS0_9templates4cuda21uniform_and_transformIddPNS_17CUDAGeneratorImplEZZZNS4_13cauchy_kernelIS7_EEvRNS_18TensorIteratorBaseEddT_ENKUlvE_clEvENKUlvE_clEvEUldE_EEvSA_T1_T2_EUlP25hiprandStatePhilox4_32_10E_ZNS1_27distribution_nullary_kernelIdd15HIP_vector_typeIdLj2EES7_SJ_SE_EEvSA_SG_RKT3_T4_EUlidE0_EEvlNS_15PhiloxCudaStateESF_SG_,@function
_ZN2at6native12_GLOBAL__N_143distribution_elementwise_grid_stride_kernelIdLi2EZNS0_9templates4cuda21uniform_and_transformIddPNS_17CUDAGeneratorImplEZZZNS4_13cauchy_kernelIS7_EEvRNS_18TensorIteratorBaseEddT_ENKUlvE_clEvENKUlvE_clEvEUldE_EEvSA_T1_T2_EUlP25hiprandStatePhilox4_32_10E_ZNS1_27distribution_nullary_kernelIdd15HIP_vector_typeIdLj2EES7_SJ_SE_EEvSA_SG_RKT3_T4_EUlidE0_EEvlNS_15PhiloxCudaStateESF_SG_: ; @_ZN2at6native12_GLOBAL__N_143distribution_elementwise_grid_stride_kernelIdLi2EZNS0_9templates4cuda21uniform_and_transformIddPNS_17CUDAGeneratorImplEZZZNS4_13cauchy_kernelIS7_EEvRNS_18TensorIteratorBaseEddT_ENKUlvE_clEvENKUlvE_clEvEUldE_EEvSA_T1_T2_EUlP25hiprandStatePhilox4_32_10E_ZNS1_27distribution_nullary_kernelIdd15HIP_vector_typeIdLj2EES7_SJ_SE_EEvSA_SG_RKT3_T4_EUlidE0_EEvlNS_15PhiloxCudaStateESF_SG_
; %bb.0:
	s_clause 0x2
	s_load_b64 s[4:5], s[0:1], 0x10
	s_load_b128 s[16:19], s[0:1], 0x0
	s_load_b32 s2, s[0:1], 0x20
	s_waitcnt lgkmcnt(0)
	v_dual_mov_b32 v2, s4 :: v_dual_mov_b32 v3, s5
	v_dual_mov_b32 v8, s18 :: v_dual_mov_b32 v9, s19
	s_bitcmp0_b32 s2, 0
	s_mov_b32 s2, 0
	s_cbranch_scc1 .LBB1_2
; %bb.1:
	v_dual_mov_b32 v1, s4 :: v_dual_mov_b32 v2, s5
	v_dual_mov_b32 v4, s18 :: v_dual_mov_b32 v5, s19
	s_load_b64 s[4:5], s[0:1], 0x18
	flat_load_b64 v[2:3], v[1:2]
	flat_load_b64 v[8:9], v[4:5]
	s_waitcnt vmcnt(1) lgkmcnt(0)
	v_add_co_u32 v2, vcc_lo, v2, s4
	v_add_co_ci_u32_e32 v3, vcc_lo, s5, v3, vcc_lo
.LBB1_2:
	s_clause 0x1
	s_load_b32 s3, s[0:1], 0x15c
	s_load_b32 s5, s[0:1], 0x150
	s_waitcnt lgkmcnt(0)
	s_and_b32 s4, s3, 0xffff
	s_add_u32 s6, s16, -1
	s_mul_i32 s33, s5, s4
	s_addc_u32 s3, s17, -1
	s_lshl_b32 s74, s33, 1
	s_cmp_lg_u64 s[2:3], 0
	s_cbranch_scc0 .LBB1_57
; %bb.3:
	v_cvt_f32_ubyte0_e32 v1, 0
	v_cvt_f32_u32_e32 v4, s74
	s_sub_u32 s8, 0, s74
	s_subb_u32 s9, 0, 0
	s_delay_alu instid0(VALU_DEP_1) | instskip(NEXT) | instid1(VALU_DEP_1)
	v_fmamk_f32 v1, v1, 0x4f800000, v4
	v_rcp_f32_e32 v1, v1
	s_waitcnt_depctr 0xfff
	v_mul_f32_e32 v1, 0x5f7ffffc, v1
	s_delay_alu instid0(VALU_DEP_1) | instskip(NEXT) | instid1(VALU_DEP_1)
	v_mul_f32_e32 v4, 0x2f800000, v1
	v_trunc_f32_e32 v4, v4
	s_delay_alu instid0(VALU_DEP_1) | instskip(SKIP_1) | instid1(VALU_DEP_2)
	v_fmamk_f32 v1, v4, 0xcf800000, v1
	v_cvt_u32_f32_e32 v4, v4
	v_cvt_u32_f32_e32 v1, v1
	s_delay_alu instid0(VALU_DEP_2) | instskip(NEXT) | instid1(VALU_DEP_2)
	v_readfirstlane_b32 s2, v4
	v_readfirstlane_b32 s7, v1
	s_delay_alu instid0(VALU_DEP_2) | instskip(NEXT) | instid1(VALU_DEP_1)
	s_mul_i32 s10, s8, s2
	s_mul_hi_u32 s12, s8, s7
	s_mul_i32 s11, s9, s7
	s_add_i32 s10, s12, s10
	s_mul_i32 s13, s8, s7
	s_add_i32 s10, s10, s11
	s_mul_hi_u32 s12, s7, s13
	s_mul_hi_u32 s14, s2, s13
	s_mul_i32 s11, s2, s13
	s_mul_hi_u32 s13, s7, s10
	s_mul_i32 s7, s7, s10
	s_mul_hi_u32 s18, s2, s10
	s_add_u32 s7, s12, s7
	s_addc_u32 s12, 0, s13
	s_add_u32 s7, s7, s11
	s_mul_i32 s10, s2, s10
	s_addc_u32 s7, s12, s14
	s_addc_u32 s11, s18, 0
	s_add_u32 s7, s7, s10
	s_addc_u32 s10, 0, s11
	v_add_co_u32 v1, s7, v1, s7
	s_delay_alu instid0(VALU_DEP_1) | instskip(SKIP_1) | instid1(VALU_DEP_1)
	s_cmp_lg_u32 s7, 0
	s_addc_u32 s2, s2, s10
	v_readfirstlane_b32 s7, v1
	s_mul_i32 s10, s8, s2
	s_delay_alu instid0(VALU_DEP_1)
	s_mul_hi_u32 s11, s8, s7
	s_mul_i32 s9, s9, s7
	s_add_i32 s10, s11, s10
	s_mul_i32 s8, s8, s7
	s_add_i32 s10, s10, s9
	s_mul_hi_u32 s11, s2, s8
	s_mul_i32 s12, s2, s8
	s_mul_hi_u32 s8, s7, s8
	s_mul_hi_u32 s13, s7, s10
	s_mul_i32 s7, s7, s10
	s_mul_hi_u32 s9, s2, s10
	s_add_u32 s7, s8, s7
	s_addc_u32 s8, 0, s13
	s_add_u32 s7, s7, s12
	s_mul_i32 s10, s2, s10
	s_addc_u32 s7, s8, s11
	s_addc_u32 s8, s9, 0
	s_add_u32 s7, s7, s10
	s_addc_u32 s8, 0, s8
	v_add_co_u32 v1, s7, v1, s7
	s_delay_alu instid0(VALU_DEP_1) | instskip(SKIP_2) | instid1(VALU_DEP_1)
	s_cmp_lg_u32 s7, 0
	s_addc_u32 s7, s2, s8
	s_ashr_i32 s8, s3, 31
	v_readfirstlane_b32 s10, v1
	s_add_u32 s2, s6, s8
	s_mov_b32 s9, s8
	s_addc_u32 s3, s3, s8
	s_delay_alu instid0(SALU_CYCLE_1) | instskip(NEXT) | instid1(SALU_CYCLE_1)
	s_xor_b64 s[2:3], s[2:3], s[8:9]
	s_mul_i32 s12, s2, s7
	s_mul_hi_u32 s13, s2, s10
	s_mul_hi_u32 s11, s2, s7
	;; [unrolled: 1-line block ×3, first 2 shown]
	s_mul_i32 s10, s3, s10
	s_add_u32 s12, s13, s12
	s_addc_u32 s11, 0, s11
	s_mul_hi_u32 s14, s3, s7
	s_add_u32 s10, s12, s10
	s_mul_i32 s7, s3, s7
	s_addc_u32 s10, s11, s18
	s_addc_u32 s11, s14, 0
	s_add_u32 s7, s10, s7
	s_addc_u32 s10, 0, s11
	s_mul_i32 s12, s74, s7
	s_add_u32 s11, s7, 1
	v_sub_co_u32 v1, s2, s2, s12
	s_mul_hi_u32 s12, s74, s7
	s_addc_u32 s13, s10, 0
	s_mul_i32 s14, s74, s10
	s_delay_alu instid0(VALU_DEP_1)
	v_sub_co_u32 v4, s18, v1, s74
	s_add_u32 s19, s7, 2
	s_addc_u32 s20, s10, 0
	s_add_i32 s12, s12, s14
	s_cmp_lg_u32 s2, 0
	v_readfirstlane_b32 s2, v4
	s_subb_u32 s3, s3, s12
	s_cmp_lg_u32 s18, 0
	s_subb_u32 s12, s3, 0
	s_delay_alu instid0(VALU_DEP_1) | instskip(SKIP_4) | instid1(SALU_CYCLE_1)
	s_cmp_ge_u32 s2, s74
	s_cselect_b32 s2, -1, 0
	s_cmp_eq_u32 s12, 0
	v_readfirstlane_b32 s12, v1
	s_cselect_b32 s2, s2, -1
	s_cmp_lg_u32 s2, 0
	s_cselect_b32 s2, s19, s11
	s_cselect_b32 s11, s20, s13
	s_cmp_ge_u32 s12, s74
	s_cselect_b32 s12, -1, 0
	s_cmp_eq_u32 s3, 0
	s_cselect_b32 s3, s12, -1
	s_delay_alu instid0(SALU_CYCLE_1) | instskip(SKIP_2) | instid1(SALU_CYCLE_1)
	s_cmp_lg_u32 s3, 0
	s_cselect_b32 s3, s11, s10
	s_cselect_b32 s2, s2, s7
	s_xor_b64 s[2:3], s[2:3], s[8:9]
	s_delay_alu instid0(SALU_CYCLE_1)
	s_sub_u32 s2, s2, s8
	s_subb_u32 s3, s3, s8
	s_cbranch_execnz .LBB1_5
.LBB1_4:
	v_cvt_f32_u32_e32 v1, s74
	s_sub_i32 s3, 0, s74
	s_delay_alu instid0(VALU_DEP_1) | instskip(SKIP_2) | instid1(VALU_DEP_1)
	v_rcp_iflag_f32_e32 v1, v1
	s_waitcnt_depctr 0xfff
	v_mul_f32_e32 v1, 0x4f7ffffe, v1
	v_cvt_u32_f32_e32 v1, v1
	s_delay_alu instid0(VALU_DEP_1) | instskip(NEXT) | instid1(VALU_DEP_1)
	v_readfirstlane_b32 s2, v1
	s_mul_i32 s3, s3, s2
	s_delay_alu instid0(SALU_CYCLE_1) | instskip(NEXT) | instid1(SALU_CYCLE_1)
	s_mul_hi_u32 s3, s2, s3
	s_add_i32 s2, s2, s3
	s_delay_alu instid0(SALU_CYCLE_1) | instskip(NEXT) | instid1(SALU_CYCLE_1)
	s_mul_hi_u32 s2, s6, s2
	s_mul_i32 s3, s2, s74
	s_delay_alu instid0(SALU_CYCLE_1)
	s_sub_i32 s3, s6, s3
	s_add_i32 s6, s2, 1
	s_sub_i32 s7, s3, s74
	s_cmp_ge_u32 s3, s74
	s_cselect_b32 s2, s6, s2
	s_cselect_b32 s3, s7, s3
	s_add_i32 s6, s2, 1
	s_cmp_ge_u32 s3, s74
	s_mov_b32 s3, 0
	s_cselect_b32 s2, s6, s2
.LBB1_5:
	v_mov_b32_e32 v10, 0
	s_add_u32 s2, s2, 1
	s_addc_u32 s3, s3, 0
	s_mul_hi_u32 s5, s5, s4
	s_mul_hi_u32 s6, s33, s2
	v_mov_b32_e32 v1, v10
	s_mul_i32 s3, s33, s3
	s_mul_i32 s5, s5, s2
	s_add_i32 s3, s6, s3
	s_mul_i32 s2, s33, s2
	v_mad_u64_u32 v[12:13], null, s4, s15, v[0:1]
	s_add_i32 s3, s3, s5
	s_mov_b32 s4, exec_lo
	s_lshl_b64 s[2:3], s[2:3], 1
	s_delay_alu instid0(VALU_DEP_1) | instid1(SALU_CYCLE_1)
	v_cmpx_gt_i64_e64 s[2:3], v[12:13]
	s_cbranch_execz .LBB1_56
; %bb.6:
	v_alignbit_b32 v19, v3, v2, 2
	v_mad_u64_u32 v[4:5], null, 0xcd9e8d57, v12, 0
	v_lshrrev_b32_e32 v20, 2, v3
	s_waitcnt vmcnt(0)
	v_dual_mov_b32 v11, v9 :: v_dual_add_nc_u32 v24, 0x8ff34781, v8
	v_mad_u64_u32 v[0:1], null, 0xd2511f53, v19, 0
	v_and_b32_e32 v21, 3, v2
	v_xor3_b32 v3, v8, v5, v20
	s_delay_alu instid0(VALU_DEP_4) | instskip(SKIP_4) | instid1(VALU_DEP_3)
	v_add_co_u32 v22, null, 0xbb67ae85, v11
	v_add_co_u32 v23, null, 0x9e3779b9, v8
	v_xor_b32_e32 v1, v1, v9
	v_add_co_u32 v26, null, 0x3c6ef372, v8
	v_add_co_u32 v27, null, 0x76cf5d0a, v11
	v_xor_b32_e32 v7, v1, v13
	v_mad_u64_u32 v[1:2], null, 0xd2511f53, v3, 0
	v_add_co_u32 v30, null, 0xdaa66d2b, v8
	s_delay_alu instid0(VALU_DEP_3) | instskip(SKIP_1) | instid1(VALU_DEP_4)
	v_mad_u64_u32 v[5:6], null, 0xcd9e8d57, v7, 0
	v_add_co_u32 v31, null, 0x32370b8f, v11
	v_xor3_b32 v0, v22, v2, v0
	v_add_co_u32 v32, null, 0x78dde6e4, v8
	v_add_co_u32 v35, null, 0xed9eba14, v11
	v_xor3_b32 v4, v23, v6, v4
	s_delay_alu instid0(VALU_DEP_4) | instskip(SKIP_1) | instid1(VALU_DEP_3)
	v_mad_u64_u32 v[2:3], null, 0xcd9e8d57, v0, 0
	v_add_co_u32 v29, null, 0x1715609d, v8
	v_mad_u64_u32 v[6:7], null, 0xd2511f53, v4, 0
	v_add_co_u32 v36, null, 0xa9066899, v11
	s_delay_alu instid0(VALU_DEP_4) | instskip(SKIP_3) | instid1(VALU_DEP_4)
	v_xor3_b32 v3, v26, v3, v5
	v_add_co_u32 v33, null, 0xb54cda56, v8
	v_add_co_u32 v37, null, 0x646e171e, v11
	v_xor3_b32 v5, v27, v7, v1
	v_mad_u64_u32 v[0:1], null, 0xd2511f53, v3, 0
	s_load_b256 s[4:11], s[0:1], 0x30
	v_add_co_u32 v28, null, 0x5384540f, v8
	s_delay_alu instid0(VALU_DEP_3) | instskip(SKIP_1) | instid1(VALU_DEP_4)
	v_mad_u64_u32 v[3:4], null, 0xcd9e8d57, v5, 0
	v_add_co_u32 v38, null, 0x1fd5c5a3, v11
	v_xor3_b32 v5, v31, v1, v6
	v_add_co_u32 v34, null, 0xf1bbcdc8, v8
	v_add_co_u32 v39, null, 0xdb3d7428, v11
	v_xor3_b32 v6, v30, v4, v2
	s_delay_alu instid0(VALU_DEP_4)
	v_mad_u64_u32 v[1:2], null, 0xcd9e8d57, v5, 0
	s_add_u32 s18, s0, 48
	s_clause 0x2
	s_load_b64 s[20:21], s[0:1], 0x148
	s_load_b64 s[22:23], s[0:1], 0xf4
	s_load_b128 s[12:15], s[0:1], 0x138
	v_mad_u64_u32 v[4:5], null, 0xd2511f53, v6, 0
	s_addc_u32 s19, s1, 0
	s_waitcnt lgkmcnt(0)
	s_add_i32 s26, s4, -1
	v_xor3_b32 v6, v32, v2, v3
	s_cmp_gt_u32 s26, 1
	v_dual_mov_b32 v40, v12 :: v_dual_add_nc_u32 v25, 0x96a522ad, v9
	s_delay_alu instid0(VALU_DEP_3) | instskip(NEXT) | instid1(VALU_DEP_3)
	v_xor3_b32 v0, v35, v5, v0
	v_mad_u64_u32 v[2:3], null, 0xd2511f53, v6, 0
	s_cselect_b32 s11, -1, 0
	s_cmp_lg_u32 s4, 0
	s_delay_alu instid0(VALU_DEP_2) | instskip(SKIP_2) | instid1(VALU_DEP_2)
	v_mad_u64_u32 v[5:6], null, 0xcd9e8d57, v0, 0
	s_cselect_b32 s76, -1, 0
	s_add_u32 s36, s0, 0xf4
	v_xor3_b32 v3, v36, v3, v4
	s_addc_u32 s37, s1, 0
	s_min_u32 s0, s26, 15
	s_cmp_gt_u32 s4, 1
	s_delay_alu instid0(VALU_DEP_2) | instskip(SKIP_3) | instid1(VALU_DEP_2)
	v_xor3_b32 v6, v29, v6, v1
	v_mad_u64_u32 v[0:1], null, 0xcd9e8d57, v3, 0
	s_cselect_b32 s4, -1, 0
	s_add_i32 s0, s0, 1
	v_mad_u64_u32 v[3:4], null, 0xd2511f53, v6, 0
	s_and_b32 s77, s0, 3
	s_cmp_lg_u32 s26, 2
	s_delay_alu instid0(VALU_DEP_2) | instskip(SKIP_3) | instid1(VALU_DEP_3)
	v_xor3_b32 v5, v33, v1, v5
	s_cselect_b32 s78, -1, 0
	s_and_b32 s79, s0, 28
	v_mov_b32_e32 v41, v13
	v_xor3_b32 v6, v37, v4, v2
	v_mad_u64_u32 v[1:2], null, 0xd2511f53, v5, 0
	s_cmp_lg_u32 s77, 0
	s_mov_b32 s24, 0x54442d18
	s_delay_alu instid0(VALU_DEP_2) | instskip(SKIP_2) | instid1(VALU_DEP_2)
	v_mad_u64_u32 v[4:5], null, 0xcd9e8d57, v6, 0
	s_mov_b32 s28, 0x6dc9c883
	s_mov_b32 s30, 0x33145c00
	v_xor3_b32 v6, v38, v2, v3
	s_mov_b32 s34, 0x252049c0
	s_mov_b32 s38, 0xa9a29f71
	;; [unrolled: 1-line block ×3, first 2 shown]
	s_delay_alu instid0(VALU_DEP_2) | instskip(SKIP_3) | instid1(VALU_DEP_2)
	v_xor3_b32 v0, v28, v5, v0
	v_mad_u64_u32 v[2:3], null, 0xcd9e8d57, v6, 0
	s_mov_b32 s42, 0x90a8aae0
	s_mov_b32 s44, 0xa6fbf144
	v_mad_u64_u32 v[14:15], null, 0xd2511f53, v0, 0
	s_mov_b32 s46, 0xa7943acf
	s_mov_b32 s48, 0xdeb68feb
	s_delay_alu instid0(VALU_DEP_2) | instskip(SKIP_3) | instid1(VALU_DEP_2)
	v_xor3_b32 v3, v34, v3, v4
	s_mov_b32 s50, 0xb58c4d95
	s_mov_b32 s52, 0x15120e2c
	;; [unrolled: 1-line block ×3, first 2 shown]
	v_xor3_b32 v6, v39, v15, v1
	v_mad_u64_u32 v[0:1], null, 0xd2511f53, v3, 0
	s_mov_b32 s56, 0x2033784d
	s_mov_b32 s58, 0x9ac36ae2
	s_delay_alu instid0(VALU_DEP_2) | instskip(SKIP_2) | instid1(VALU_DEP_2)
	v_mad_u64_u32 v[4:5], null, 0xcd9e8d57, v6, 0
	s_mov_b32 s60, 0x1b451c21
	s_mov_b32 s62, 0x111185b7
	v_mov_b32_e32 v6, v0
	s_mov_b32 s64, 0x555554ee
	s_mov_b32 s75, 0
	;; [unrolled: 1-line block ×3, first 2 shown]
	s_delay_alu instid0(VALU_DEP_2)
	v_xor3_b32 v3, v5, v2, v24
	v_xor3_b32 v5, v1, v14, v25
	s_mov_b32 s27, 0x3ff921fb
	s_mov_b32 s29, 0x3fe45f30
	s_mov_b32 s31, 0xbc91a626
	s_mov_b32 s35, 0xb97b839a
	s_mov_b32 s39, 0xbf078809
	s_cselect_b32 s80, -1, 0
	s_mov_b32 s41, 0x3ef5e089
	s_mov_b32 s43, 0x3f17746f
	;; [unrolled: 1-line block ×16, first 2 shown]
	s_branch .LBB1_9
.LBB1_7:                                ;   in Loop: Header=BB1_9 Depth=1
	s_or_b32 exec_lo, exec_lo, s26
	v_mul_f64 v[42:43], v[6:7], v[6:7]
	s_delay_alu instid0(VALU_DEP_2) | instskip(SKIP_2) | instid1(VALU_DEP_4)
	v_add_f64 v[44:45], v[15:16], v[15:16]
	v_cmp_class_f64_e64 s0, v[4:5], 0x1f8
	v_and_b32_e32 v5, 0x80000000, v5
	v_fma_f64 v[46:47], v[6:7], v[6:7], -v[42:43]
	s_delay_alu instid0(VALU_DEP_1) | instskip(NEXT) | instid1(VALU_DEP_1)
	v_fma_f64 v[44:45], v[6:7], v[44:45], v[46:47]
	v_add_f64 v[42:43], v[42:43], v[44:45]
	s_delay_alu instid0(VALU_DEP_1) | instskip(NEXT) | instid1(VALU_DEP_1)
	v_fma_f64 v[44:45], v[42:43], s[40:41], s[38:39]
	v_fma_f64 v[44:45], v[42:43], v[44:45], s[42:43]
	s_delay_alu instid0(VALU_DEP_1) | instskip(NEXT) | instid1(VALU_DEP_1)
	v_fma_f64 v[44:45], v[42:43], v[44:45], s[44:45]
	v_fma_f64 v[44:45], v[42:43], v[44:45], s[46:47]
	;; [unrolled: 3-line block ×6, first 2 shown]
	s_delay_alu instid0(VALU_DEP_1) | instskip(NEXT) | instid1(VALU_DEP_1)
	v_fma_f64 v[44:45], v[42:43], v[44:45], s[64:65]
	v_mul_f64 v[42:43], v[42:43], v[44:45]
	s_delay_alu instid0(VALU_DEP_1) | instskip(NEXT) | instid1(VALU_DEP_1)
	v_mul_f64 v[44:45], v[6:7], v[42:43]
	v_add_f64 v[46:47], v[6:7], v[44:45]
	v_fma_f64 v[42:43], v[6:7], v[42:43], -v[44:45]
	s_delay_alu instid0(VALU_DEP_2) | instskip(NEXT) | instid1(VALU_DEP_2)
	v_add_f64 v[6:7], v[46:47], -v[6:7]
	v_add_f64 v[15:16], v[15:16], v[42:43]
	s_delay_alu instid0(VALU_DEP_2) | instskip(NEXT) | instid1(VALU_DEP_1)
	v_add_f64 v[6:7], v[44:45], -v[6:7]
	v_add_f64 v[6:7], v[15:16], v[6:7]
	s_delay_alu instid0(VALU_DEP_1) | instskip(NEXT) | instid1(VALU_DEP_1)
	v_add_f64 v[15:16], v[46:47], v[6:7]
	v_rcp_f64_e32 v[42:43], v[15:16]
	s_waitcnt_depctr 0xfff
	v_fma_f64 v[44:45], -v[15:16], v[42:43], 1.0
	s_delay_alu instid0(VALU_DEP_1) | instskip(NEXT) | instid1(VALU_DEP_1)
	v_fma_f64 v[42:43], v[44:45], v[42:43], v[42:43]
	v_fma_f64 v[44:45], -v[15:16], v[42:43], 1.0
	s_delay_alu instid0(VALU_DEP_1) | instskip(SKIP_1) | instid1(VALU_DEP_2)
	v_fma_f64 v[42:43], v[44:45], v[42:43], v[42:43]
	v_add_f64 v[44:45], v[15:16], -v[46:47]
	v_mul_f64 v[46:47], v[15:16], v[42:43]
	s_delay_alu instid0(VALU_DEP_2) | instskip(NEXT) | instid1(VALU_DEP_2)
	v_add_f64 v[6:7], v[6:7], -v[44:45]
	v_fma_f64 v[44:45], v[42:43], v[15:16], -v[46:47]
	s_delay_alu instid0(VALU_DEP_1) | instskip(NEXT) | instid1(VALU_DEP_1)
	v_fma_f64 v[6:7], v[42:43], v[6:7], v[44:45]
	v_add_f64 v[44:45], v[46:47], v[6:7]
	s_delay_alu instid0(VALU_DEP_1) | instskip(SKIP_1) | instid1(VALU_DEP_2)
	v_add_f64 v[48:49], -v[44:45], 1.0
	v_add_f64 v[46:47], v[44:45], -v[46:47]
	v_add_f64 v[50:51], -v[48:49], 1.0
	s_delay_alu instid0(VALU_DEP_2) | instskip(NEXT) | instid1(VALU_DEP_2)
	v_add_f64 v[6:7], v[46:47], -v[6:7]
	v_add_f64 v[44:45], v[50:51], -v[44:45]
	s_delay_alu instid0(VALU_DEP_1) | instskip(NEXT) | instid1(VALU_DEP_1)
	v_add_f64 v[6:7], v[6:7], v[44:45]
	v_add_f64 v[6:7], v[48:49], v[6:7]
	s_delay_alu instid0(VALU_DEP_1) | instskip(NEXT) | instid1(VALU_DEP_1)
	v_mul_f64 v[6:7], v[42:43], v[6:7]
	v_add_f64 v[6:7], v[42:43], v[6:7]
	v_and_b32_e32 v11, 1, v17
	s_delay_alu instid0(VALU_DEP_1) | instskip(NEXT) | instid1(VALU_DEP_3)
	v_cmp_eq_u32_e32 vcc_lo, 0, v11
	v_cndmask_b32_e32 v6, v6, v15, vcc_lo
	s_delay_alu instid0(VALU_DEP_4) | instskip(NEXT) | instid1(VALU_DEP_1)
	v_xor_b32_e32 v4, 0x80000000, v7
	v_cndmask_b32_e32 v4, v4, v16, vcc_lo
	s_delay_alu instid0(VALU_DEP_1) | instskip(NEXT) | instid1(VALU_DEP_4)
	v_xor_b32_e32 v5, v4, v5
	v_cndmask_b32_e64 v4, 0, v6, s0
	s_delay_alu instid0(VALU_DEP_2) | instskip(NEXT) | instid1(VALU_DEP_1)
	v_cndmask_b32_e64 v5, 0x7ff80000, v5, s0
	v_fma_f64 v[4:5], s[20:21], v[4:5], s[14:15]
	global_store_b64 v3, v[4:5], s[12:13]
.LBB1_8:                                ;   in Loop: Header=BB1_9 Depth=1
	s_or_b32 exec_lo, exec_lo, s81
	v_add_co_u32 v12, vcc_lo, v12, s74
	v_add_co_ci_u32_e32 v13, vcc_lo, 0, v13, vcc_lo
	v_mov_b32_e32 v3, v14
	s_waitcnt_vscnt null, 0x0
	s_barrier
	s_delay_alu instid0(VALU_DEP_2)
	v_cmp_le_i64_e32 vcc_lo, s[2:3], v[12:13]
	buffer_gl0_inv
	v_mov_b32_e32 v6, v3
	v_dual_mov_b32 v5, v2 :: v_dual_mov_b32 v4, v1
	v_mov_b32_e32 v3, v0
	s_or_b32 s75, vcc_lo, s75
	s_delay_alu instid0(SALU_CYCLE_1)
	s_and_not1_b32 exec_lo, exec_lo, s75
	s_cbranch_execz .LBB1_56
.LBB1_9:                                ; =>This Loop Header: Depth=1
                                        ;     Child Loop BB1_24 Depth 2
                                        ;     Child Loop BB1_29 Depth 2
	;; [unrolled: 1-line block ×4, first 2 shown]
	v_add_co_u32 v19, vcc_lo, v19, 1
	s_delay_alu instid0(VALU_DEP_1) | instskip(SKIP_2) | instid1(VALU_DEP_1)
	v_cndmask_b32_e64 v0, 0, 1, vcc_lo
	v_add_co_ci_u32_e32 v20, vcc_lo, 0, v20, vcc_lo
	s_mov_b32 s0, exec_lo
	v_cmp_eq_u32_e32 vcc_lo, 0, v20
	s_delay_alu instid0(VALU_DEP_3) | instskip(NEXT) | instid1(VALU_DEP_1)
	v_cndmask_b32_e32 v0, 0, v0, vcc_lo
	v_add_nc_u32_e32 v40, v0, v40
	s_delay_alu instid0(VALU_DEP_1) | instskip(SKIP_2) | instid1(VALU_DEP_2)
	v_cmp_eq_u32_e32 vcc_lo, 0, v40
	v_mad_u64_u32 v[14:15], null, 0xcd9e8d57, v40, 0
	v_cndmask_b32_e32 v0, 0, v0, vcc_lo
	v_xor3_b32 v7, v15, v8, v20
	s_delay_alu instid0(VALU_DEP_2) | instskip(SKIP_1) | instid1(VALU_DEP_1)
	v_add_nc_u32_e32 v41, v0, v41
	v_mad_u64_u32 v[0:1], null, 0xd2511f53, v19, 0
	v_xor_b32_e32 v1, v1, v9
	s_delay_alu instid0(VALU_DEP_1) | instskip(SKIP_1) | instid1(VALU_DEP_2)
	v_xor_b32_e32 v11, v41, v1
	v_mad_u64_u32 v[1:2], null, 0xd2511f53, v7, 0
	v_mad_u64_u32 v[15:16], null, 0xcd9e8d57, v11, 0
	s_delay_alu instid0(VALU_DEP_2) | instskip(NEXT) | instid1(VALU_DEP_2)
	v_xor3_b32 v0, v22, v2, v0
	v_xor3_b32 v2, v23, v16, v14
	s_delay_alu instid0(VALU_DEP_2) | instskip(NEXT) | instid1(VALU_DEP_2)
	v_mad_u64_u32 v[16:17], null, 0xcd9e8d57, v0, 0
	v_mad_u64_u32 v[42:43], null, 0xd2511f53, v2, 0
	s_delay_alu instid0(VALU_DEP_2) | instskip(NEXT) | instid1(VALU_DEP_2)
	v_xor3_b32 v2, v26, v17, v15
	v_xor3_b32 v7, v27, v43, v1
	s_delay_alu instid0(VALU_DEP_2) | instskip(NEXT) | instid1(VALU_DEP_2)
	;; [unrolled: 6-line block ×8, first 2 shown]
	v_mad_u64_u32 v[14:15], null, 0xd2511f53, v0, 0
	v_mad_u64_u32 v[1:2], null, 0xcd9e8d57, v7, 0
	s_delay_alu instid0(VALU_DEP_2) | instskip(NEXT) | instid1(VALU_DEP_2)
	v_xor3_b32 v7, v15, v42, v25
	v_xor3_b32 v0, v2, v16, v24
	s_delay_alu instid0(VALU_DEP_2)
	v_mov_b32_e32 v2, v7
	v_cmpx_lt_i32_e32 1, v21
	s_xor_b32 s0, exec_lo, s0
	s_cbranch_execnz .LBB1_12
; %bb.10:                               ;   in Loop: Header=BB1_9 Depth=1
	s_and_not1_saveexec_b32 s0, s0
	s_cbranch_execnz .LBB1_17
.LBB1_11:                               ;   in Loop: Header=BB1_9 Depth=1
	s_or_b32 exec_lo, exec_lo, s0
	s_delay_alu instid0(SALU_CYCLE_1)
	s_mov_b32 s81, exec_lo
	v_cmpx_gt_i64_e64 s[16:17], v[12:13]
	s_cbranch_execnz .LBB1_20
	s_branch .LBB1_38
.LBB1_12:                               ;   in Loop: Header=BB1_9 Depth=1
	s_mov_b32 s26, exec_lo
	v_cmpx_lt_i32_e32 2, v21
	s_xor_b32 s26, exec_lo, s26
; %bb.13:                               ;   in Loop: Header=BB1_9 Depth=1
	v_dual_mov_b32 v4, v6 :: v_dual_mov_b32 v5, v0
	v_mov_b32_e32 v6, v1
	s_delay_alu instid0(VALU_DEP_2) | instskip(NEXT) | instid1(VALU_DEP_3)
	v_mov_b32_e32 v3, v4
	v_mov_b32_e32 v4, v5
	s_delay_alu instid0(VALU_DEP_3)
	v_mov_b32_e32 v5, v6
	v_mov_b32_e32 v6, v7
; %bb.14:                               ;   in Loop: Header=BB1_9 Depth=1
	s_and_not1_saveexec_b32 s26, s26
; %bb.15:                               ;   in Loop: Header=BB1_9 Depth=1
	s_delay_alu instid0(VALU_DEP_1)
	v_dual_mov_b32 v3, v5 :: v_dual_mov_b32 v4, v6
	v_dual_mov_b32 v5, v0 :: v_dual_mov_b32 v6, v1
; %bb.16:                               ;   in Loop: Header=BB1_9 Depth=1
	s_or_b32 exec_lo, exec_lo, s26
	s_and_not1_saveexec_b32 s0, s0
	s_cbranch_execz .LBB1_11
.LBB1_17:                               ;   in Loop: Header=BB1_9 Depth=1
	s_mov_b32 s26, exec_lo
	v_cmpx_eq_u32_e32 1, v21
; %bb.18:                               ;   in Loop: Header=BB1_9 Depth=1
	v_dual_mov_b32 v3, v4 :: v_dual_mov_b32 v4, v5
	v_dual_mov_b32 v5, v6 :: v_dual_mov_b32 v6, v0
; %bb.19:                               ;   in Loop: Header=BB1_9 Depth=1
	s_or_b32 exec_lo, exec_lo, s26
	s_delay_alu instid0(SALU_CYCLE_1) | instskip(NEXT) | instid1(SALU_CYCLE_1)
	s_or_b32 exec_lo, exec_lo, s0
	s_mov_b32 s81, exec_lo
	v_cmpx_gt_i64_e64 s[16:17], v[12:13]
	s_cbranch_execz .LBB1_38
.LBB1_20:                               ;   in Loop: Header=BB1_9 Depth=1
	s_and_not1_b32 vcc_lo, exec_lo, s11
	s_cbranch_vccnz .LBB1_26
; %bb.21:                               ;   in Loop: Header=BB1_9 Depth=1
	v_mov_b32_e32 v7, 0
	s_and_not1_b32 vcc_lo, exec_lo, s76
	s_cbranch_vccnz .LBB1_30
; %bb.22:                               ;   in Loop: Header=BB1_9 Depth=1
	s_and_not1_b32 vcc_lo, exec_lo, s78
	s_mov_b32 s0, 0
	s_cbranch_vccnz .LBB1_27
; %bb.23:                               ;   in Loop: Header=BB1_9 Depth=1
	v_mov_b32_e32 v7, 0
	v_mov_b32_e32 v11, v12
	s_mov_b64 s[70:71], s[18:19]
	s_mov_b64 s[72:73], s[36:37]
.LBB1_24:                               ;   Parent Loop BB1_9 Depth=1
                                        ; =>  This Inner Loop Header: Depth=2
	s_clause 0x1
	s_load_b256 s[84:91], s[70:71], 0x4
	s_load_b128 s[92:95], s[70:71], 0x24
	s_load_b128 s[96:99], s[72:73], 0x0
	s_add_u32 s70, s70, 48
	s_addc_u32 s71, s71, 0
	s_add_i32 s0, s0, 4
	s_add_u32 s72, s72, 16
	s_addc_u32 s73, s73, 0
	s_cmp_lg_u32 s79, s0
	s_waitcnt lgkmcnt(0)
	v_mul_hi_u32 v15, s85, v11
	s_delay_alu instid0(VALU_DEP_1) | instskip(NEXT) | instid1(VALU_DEP_1)
	v_add_nc_u32_e32 v15, v11, v15
	v_lshrrev_b32_e32 v15, s86, v15
	s_delay_alu instid0(VALU_DEP_1) | instskip(SKIP_1) | instid1(VALU_DEP_2)
	v_mul_hi_u32 v16, s88, v15
	v_mul_lo_u32 v42, v15, s84
	v_add_nc_u32_e32 v16, v15, v16
	s_delay_alu instid0(VALU_DEP_2) | instskip(NEXT) | instid1(VALU_DEP_2)
	v_sub_nc_u32_e32 v42, v11, v42
	v_lshrrev_b32_e32 v16, s89, v16
	s_delay_alu instid0(VALU_DEP_2) | instskip(NEXT) | instid1(VALU_DEP_2)
	v_mul_lo_u32 v42, v42, s96
	v_mul_hi_u32 v17, s91, v16
	v_mul_lo_u32 v43, v16, s87
	s_delay_alu instid0(VALU_DEP_2) | instskip(NEXT) | instid1(VALU_DEP_2)
	v_add_nc_u32_e32 v17, v16, v17
	v_sub_nc_u32_e32 v15, v15, v43
	s_delay_alu instid0(VALU_DEP_2) | instskip(NEXT) | instid1(VALU_DEP_2)
	v_lshrrev_b32_e32 v17, s92, v17
	v_mul_lo_u32 v15, v15, s97
	s_delay_alu instid0(VALU_DEP_2) | instskip(NEXT) | instid1(VALU_DEP_2)
	v_mul_hi_u32 v18, s94, v17
	v_add3_u32 v7, v42, v7, v15
	s_delay_alu instid0(VALU_DEP_2) | instskip(NEXT) | instid1(VALU_DEP_1)
	v_add_nc_u32_e32 v18, v17, v18
	v_lshrrev_b32_e32 v11, s95, v18
	v_mul_lo_u32 v18, v17, s90
	s_delay_alu instid0(VALU_DEP_2) | instskip(NEXT) | instid1(VALU_DEP_2)
	v_mul_lo_u32 v44, v11, s93
	v_sub_nc_u32_e32 v16, v16, v18
	s_delay_alu instid0(VALU_DEP_2) | instskip(NEXT) | instid1(VALU_DEP_2)
	v_sub_nc_u32_e32 v17, v17, v44
	v_mul_lo_u32 v16, v16, s98
	s_delay_alu instid0(VALU_DEP_2) | instskip(NEXT) | instid1(VALU_DEP_1)
	v_mul_lo_u32 v17, v17, s99
	v_add3_u32 v7, v16, v7, v17
	s_cbranch_scc1 .LBB1_24
; %bb.25:                               ;   in Loop: Header=BB1_9 Depth=1
	s_mov_b32 s0, s79
	s_and_not1_b32 vcc_lo, exec_lo, s80
	s_cbranch_vccz .LBB1_28
	s_branch .LBB1_30
.LBB1_26:                               ;   in Loop: Header=BB1_9 Depth=1
                                        ; implicit-def: $vgpr7
	s_branch .LBB1_31
.LBB1_27:                               ;   in Loop: Header=BB1_9 Depth=1
	v_mov_b32_e32 v11, v12
	s_and_not1_b32 vcc_lo, exec_lo, s80
	s_cbranch_vccnz .LBB1_30
.LBB1_28:                               ;   in Loop: Header=BB1_9 Depth=1
	s_lshl_b32 s26, s0, 2
	s_mul_i32 s0, s0, 12
	s_add_u32 s70, s36, s26
	s_addc_u32 s71, s37, 0
	s_add_u32 s72, s18, s0
	s_addc_u32 s73, s19, 0
	s_mov_b32 s0, s77
	.p2align	6
.LBB1_29:                               ;   Parent Loop BB1_9 Depth=1
                                        ; =>  This Inner Loop Header: Depth=2
	s_clause 0x1
	s_load_b64 s[82:83], s[72:73], 0x4
	s_load_b32 s26, s[72:73], 0xc
	s_load_b32 s67, s[70:71], 0x0
	s_add_u32 s72, s72, 12
	s_addc_u32 s73, s73, 0
	s_add_u32 s70, s70, 4
	s_addc_u32 s71, s71, 0
	s_add_i32 s0, s0, -1
	s_delay_alu instid0(SALU_CYCLE_1) | instskip(SKIP_2) | instid1(VALU_DEP_1)
	s_cmp_lg_u32 s0, 0
	s_waitcnt lgkmcnt(0)
	v_mul_hi_u32 v15, s83, v11
	v_add_nc_u32_e32 v15, v11, v15
	s_delay_alu instid0(VALU_DEP_1) | instskip(NEXT) | instid1(VALU_DEP_1)
	v_lshrrev_b32_e32 v17, s26, v15
	v_mul_lo_u32 v15, v17, s82
	s_delay_alu instid0(VALU_DEP_1) | instskip(NEXT) | instid1(VALU_DEP_1)
	v_sub_nc_u32_e32 v11, v11, v15
	v_mad_u64_u32 v[15:16], null, v11, s67, v[7:8]
	v_mov_b32_e32 v11, v17
	s_delay_alu instid0(VALU_DEP_2)
	v_mov_b32_e32 v7, v15
	s_cbranch_scc1 .LBB1_29
.LBB1_30:                               ;   in Loop: Header=BB1_9 Depth=1
	s_cbranch_execnz .LBB1_33
.LBB1_31:                               ;   in Loop: Header=BB1_9 Depth=1
	v_mul_hi_u32 v7, v12, s6
	s_and_not1_b32 vcc_lo, exec_lo, s4
	s_delay_alu instid0(VALU_DEP_1) | instskip(NEXT) | instid1(VALU_DEP_1)
	v_add_nc_u32_e32 v7, v7, v12
	v_lshrrev_b32_e32 v11, s7, v7
	s_delay_alu instid0(VALU_DEP_1) | instskip(NEXT) | instid1(VALU_DEP_1)
	v_mul_lo_u32 v7, v11, s5
	v_sub_nc_u32_e32 v7, v12, v7
	s_delay_alu instid0(VALU_DEP_1)
	v_mul_lo_u32 v7, v7, s22
	s_cbranch_vccnz .LBB1_33
; %bb.32:                               ;   in Loop: Header=BB1_9 Depth=1
	v_mul_hi_u32 v15, s9, v11
	s_delay_alu instid0(VALU_DEP_1) | instskip(NEXT) | instid1(VALU_DEP_1)
	v_add_nc_u32_e32 v15, v11, v15
	v_lshrrev_b32_e32 v15, s10, v15
	s_delay_alu instid0(VALU_DEP_1) | instskip(NEXT) | instid1(VALU_DEP_1)
	v_mul_lo_u32 v15, v15, s8
	v_sub_nc_u32_e32 v11, v11, v15
	s_delay_alu instid0(VALU_DEP_1) | instskip(NEXT) | instid1(VALU_DEP_1)
	v_mad_u64_u32 v[15:16], null, v11, s23, v[7:8]
	v_mov_b32_e32 v7, v15
.LBB1_33:                               ;   in Loop: Header=BB1_9 Depth=1
	v_lshrrev_b32_e32 v4, 11, v4
                                        ; implicit-def: $vgpr42
                                        ; implicit-def: $vgpr17_vgpr18
	s_mov_b32 s26, exec_lo
	s_delay_alu instid0(VALU_DEP_1) | instskip(SKIP_1) | instid1(VALU_DEP_2)
	v_cvt_f64_u32_e32 v[15:16], v4
	v_cvt_f64_u32_e32 v[3:4], v3
	v_ldexp_f64 v[15:16], v[15:16], 32
	s_delay_alu instid0(VALU_DEP_1) | instskip(NEXT) | instid1(VALU_DEP_1)
	v_add_f64 v[3:4], v[15:16], v[3:4]
                                        ; implicit-def: $vgpr15_vgpr16
	v_fma_f64 v[3:4], 0x3ca00000, v[3:4], 0x3ca00000
	s_delay_alu instid0(VALU_DEP_1) | instskip(NEXT) | instid1(VALU_DEP_1)
	v_add_f64 v[3:4], v[3:4], -0.5
	v_mul_f64 v[3:4], v[3:4], s[24:25]
	s_delay_alu instid0(VALU_DEP_1)
	v_cmpx_ngt_f64_e64 0x41d00000, |v[3:4]|
	s_xor_b32 s68, exec_lo, s26
	s_cbranch_execz .LBB1_35
; %bb.34:                               ;   in Loop: Header=BB1_9 Depth=1
	v_ldexp_f64 v[15:16], |v[3:4]|, 0xffffff80
	v_cmp_le_f64_e64 vcc_lo, 0x7b000000, |v[3:4]|
	v_trig_preop_f64 v[17:18], |v[3:4]|, 0
	v_and_b32_e32 v11, 0x7fffffff, v4
	v_trig_preop_f64 v[42:43], |v[3:4]|, 1
	v_trig_preop_f64 v[52:53], |v[3:4]|, 2
	s_mov_b32 s26, s24
	s_mov_b32 s67, s1
	v_cndmask_b32_e32 v16, v11, v16, vcc_lo
	v_cndmask_b32_e32 v15, v3, v15, vcc_lo
	s_delay_alu instid0(VALU_DEP_1) | instskip(SKIP_1) | instid1(VALU_DEP_2)
	v_mul_f64 v[44:45], v[17:18], v[15:16]
	v_mul_f64 v[46:47], v[42:43], v[15:16]
	v_fma_f64 v[17:18], v[17:18], v[15:16], -v[44:45]
	s_delay_alu instid0(VALU_DEP_2) | instskip(NEXT) | instid1(VALU_DEP_2)
	v_fma_f64 v[42:43], v[42:43], v[15:16], -v[46:47]
	v_add_f64 v[48:49], v[46:47], v[17:18]
	s_delay_alu instid0(VALU_DEP_1) | instskip(SKIP_1) | instid1(VALU_DEP_2)
	v_add_f64 v[50:51], v[48:49], -v[46:47]
	v_add_f64 v[56:57], v[44:45], v[48:49]
	v_add_f64 v[54:55], v[48:49], -v[50:51]
	v_add_f64 v[17:18], v[17:18], -v[50:51]
	s_delay_alu instid0(VALU_DEP_3) | instskip(SKIP_1) | instid1(VALU_DEP_4)
	v_ldexp_f64 v[50:51], v[56:57], -2
	v_add_f64 v[44:45], v[56:57], -v[44:45]
	v_add_f64 v[46:47], v[46:47], -v[54:55]
	s_delay_alu instid0(VALU_DEP_3) | instskip(NEXT) | instid1(VALU_DEP_3)
	v_cmp_neq_f64_e64 vcc_lo, 0x7ff00000, |v[50:51]|
	v_add_f64 v[44:45], v[48:49], -v[44:45]
	s_delay_alu instid0(VALU_DEP_3) | instskip(SKIP_1) | instid1(VALU_DEP_1)
	v_add_f64 v[17:18], v[17:18], v[46:47]
	v_fract_f64_e32 v[46:47], v[50:51]
	v_cndmask_b32_e32 v47, 0, v47, vcc_lo
	v_mul_f64 v[58:59], v[52:53], v[15:16]
	s_delay_alu instid0(VALU_DEP_3) | instskip(NEXT) | instid1(VALU_DEP_1)
	v_cndmask_b32_e32 v46, 0, v46, vcc_lo
	v_ldexp_f64 v[46:47], v[46:47], 2
	s_delay_alu instid0(VALU_DEP_3) | instskip(SKIP_1) | instid1(VALU_DEP_2)
	v_add_f64 v[54:55], v[58:59], v[42:43]
	v_fma_f64 v[15:16], v[52:53], v[15:16], -v[58:59]
	v_add_f64 v[48:49], v[54:55], v[17:18]
	s_delay_alu instid0(VALU_DEP_1) | instskip(SKIP_1) | instid1(VALU_DEP_2)
	v_add_f64 v[50:51], v[44:45], v[48:49]
	v_add_f64 v[60:61], v[48:49], -v[54:55]
	v_add_f64 v[56:57], v[50:51], v[46:47]
	s_delay_alu instid0(VALU_DEP_2) | instskip(SKIP_2) | instid1(VALU_DEP_4)
	v_add_f64 v[66:67], v[48:49], -v[60:61]
	v_add_f64 v[17:18], v[17:18], -v[60:61]
	;; [unrolled: 1-line block ×3, first 2 shown]
	v_cmp_gt_f64_e32 vcc_lo, 0, v[56:57]
	v_add_f64 v[56:57], v[54:55], -v[58:59]
	v_cndmask_b32_e64 v11, 0, 0x40100000, vcc_lo
	s_delay_alu instid0(VALU_DEP_2) | instskip(SKIP_2) | instid1(VALU_DEP_4)
	v_add_f64 v[64:65], v[54:55], -v[56:57]
	v_add_f64 v[42:43], v[42:43], -v[56:57]
	;; [unrolled: 1-line block ×3, first 2 shown]
	v_add_f64 v[46:47], v[46:47], v[10:11]
	s_delay_alu instid0(VALU_DEP_4) | instskip(NEXT) | instid1(VALU_DEP_3)
	v_add_f64 v[56:57], v[58:59], -v[64:65]
	v_add_f64 v[17:18], v[17:18], v[54:55]
	s_delay_alu instid0(VALU_DEP_3) | instskip(NEXT) | instid1(VALU_DEP_3)
	v_add_f64 v[62:63], v[50:51], v[46:47]
	v_add_f64 v[42:43], v[42:43], v[56:57]
	s_delay_alu instid0(VALU_DEP_2) | instskip(NEXT) | instid1(VALU_DEP_2)
	v_cvt_i32_f64_e32 v11, v[62:63]
	v_add_f64 v[17:18], v[42:43], v[17:18]
	v_add_f64 v[42:43], v[48:49], -v[44:45]
	s_delay_alu instid0(VALU_DEP_3) | instskip(NEXT) | instid1(VALU_DEP_3)
	v_cvt_f64_i32_e32 v[60:61], v11
	v_add_f64 v[15:16], v[15:16], v[17:18]
	s_delay_alu instid0(VALU_DEP_2) | instskip(NEXT) | instid1(VALU_DEP_2)
	v_add_f64 v[46:47], v[46:47], -v[60:61]
	v_add_f64 v[15:16], v[42:43], v[15:16]
	s_delay_alu instid0(VALU_DEP_2) | instskip(NEXT) | instid1(VALU_DEP_1)
	v_add_f64 v[52:53], v[50:51], v[46:47]
	v_add_f64 v[17:18], v[52:53], -v[46:47]
	v_cmp_le_f64_e32 vcc_lo, 0.5, v[52:53]
	s_delay_alu instid0(VALU_DEP_2) | instskip(SKIP_2) | instid1(VALU_DEP_3)
	v_add_f64 v[17:18], v[50:51], -v[17:18]
	v_add_co_ci_u32_e64 v42, s0, 0, v11, vcc_lo
	v_cndmask_b32_e64 v11, 0, 0x3ff00000, vcc_lo
	v_add_f64 v[15:16], v[15:16], v[17:18]
	s_delay_alu instid0(VALU_DEP_2) | instskip(NEXT) | instid1(VALU_DEP_1)
	v_add_f64 v[17:18], v[52:53], -v[10:11]
	v_add_f64 v[43:44], v[17:18], v[15:16]
	s_delay_alu instid0(VALU_DEP_1) | instskip(SKIP_1) | instid1(VALU_DEP_2)
	v_mul_f64 v[45:46], v[43:44], s[26:27]
	v_add_f64 v[17:18], v[43:44], -v[17:18]
	v_fma_f64 v[47:48], v[43:44], s[26:27], -v[45:46]
	s_delay_alu instid0(VALU_DEP_2) | instskip(NEXT) | instid1(VALU_DEP_2)
	v_add_f64 v[15:16], v[15:16], -v[17:18]
	v_fma_f64 v[17:18], v[43:44], s[66:67], v[47:48]
	s_delay_alu instid0(VALU_DEP_1) | instskip(NEXT) | instid1(VALU_DEP_1)
	v_fma_f64 v[17:18], v[15:16], s[26:27], v[17:18]
	v_add_f64 v[15:16], v[45:46], v[17:18]
	s_delay_alu instid0(VALU_DEP_1) | instskip(NEXT) | instid1(VALU_DEP_1)
	v_add_f64 v[43:44], v[15:16], -v[45:46]
	v_add_f64 v[17:18], v[17:18], -v[43:44]
.LBB1_35:                               ;   in Loop: Header=BB1_9 Depth=1
	s_and_not1_saveexec_b32 s26, s68
	s_cbranch_execz .LBB1_37
; %bb.36:                               ;   in Loop: Header=BB1_9 Depth=1
	v_mul_f64 v[15:16], |v[3:4]|, s[28:29]
	s_mov_b32 s68, s24
	s_mov_b32 s0, s30
	s_delay_alu instid0(VALU_DEP_1) | instskip(NEXT) | instid1(VALU_DEP_1)
	v_rndne_f64_e32 v[42:43], v[15:16]
	v_fma_f64 v[15:16], v[42:43], s[68:69], |v[3:4]|
	v_mul_f64 v[17:18], v[42:43], s[30:31]
	s_delay_alu instid0(VALU_DEP_2) | instskip(NEXT) | instid1(VALU_DEP_2)
	v_fma_f64 v[46:47], v[42:43], s[30:31], v[15:16]
	v_add_f64 v[44:45], v[15:16], v[17:18]
	s_delay_alu instid0(VALU_DEP_1) | instskip(NEXT) | instid1(VALU_DEP_3)
	v_add_f64 v[15:16], v[15:16], -v[44:45]
	v_add_f64 v[44:45], v[44:45], -v[46:47]
	s_delay_alu instid0(VALU_DEP_2) | instskip(SKIP_1) | instid1(VALU_DEP_2)
	v_add_f64 v[15:16], v[15:16], v[17:18]
	v_fma_f64 v[17:18], v[42:43], s[0:1], v[17:18]
	v_add_f64 v[15:16], v[44:45], v[15:16]
	s_delay_alu instid0(VALU_DEP_1) | instskip(NEXT) | instid1(VALU_DEP_1)
	v_add_f64 v[15:16], v[15:16], -v[17:18]
	v_fma_f64 v[17:18], v[42:43], s[34:35], v[15:16]
	v_cvt_i32_f64_e32 v42, v[42:43]
	s_delay_alu instid0(VALU_DEP_2) | instskip(NEXT) | instid1(VALU_DEP_1)
	v_add_f64 v[15:16], v[46:47], v[17:18]
	v_add_f64 v[44:45], v[15:16], -v[46:47]
	s_delay_alu instid0(VALU_DEP_1)
	v_add_f64 v[17:18], v[17:18], -v[44:45]
.LBB1_37:                               ;   in Loop: Header=BB1_9 Depth=1
	s_or_b32 exec_lo, exec_lo, s26
	v_mul_f64 v[43:44], v[15:16], v[15:16]
	s_delay_alu instid0(VALU_DEP_2) | instskip(SKIP_3) | instid1(VALU_DEP_2)
	v_add_f64 v[45:46], v[17:18], v[17:18]
	v_cmp_class_f64_e64 s0, v[3:4], 0x1f8
	v_and_b32_e32 v11, 1, v42
	v_and_b32_e32 v4, 0x80000000, v4
	v_cmp_eq_u32_e32 vcc_lo, 0, v11
	v_fma_f64 v[47:48], v[15:16], v[15:16], -v[43:44]
	s_delay_alu instid0(VALU_DEP_1) | instskip(NEXT) | instid1(VALU_DEP_1)
	v_fma_f64 v[45:46], v[15:16], v[45:46], v[47:48]
	v_add_f64 v[43:44], v[43:44], v[45:46]
	s_delay_alu instid0(VALU_DEP_1) | instskip(NEXT) | instid1(VALU_DEP_1)
	v_fma_f64 v[45:46], v[43:44], s[40:41], s[38:39]
	v_fma_f64 v[45:46], v[43:44], v[45:46], s[42:43]
	s_delay_alu instid0(VALU_DEP_1) | instskip(NEXT) | instid1(VALU_DEP_1)
	v_fma_f64 v[45:46], v[43:44], v[45:46], s[44:45]
	v_fma_f64 v[45:46], v[43:44], v[45:46], s[46:47]
	;; [unrolled: 3-line block ×6, first 2 shown]
	s_delay_alu instid0(VALU_DEP_1) | instskip(NEXT) | instid1(VALU_DEP_1)
	v_fma_f64 v[45:46], v[43:44], v[45:46], s[64:65]
	v_mul_f64 v[43:44], v[43:44], v[45:46]
	s_delay_alu instid0(VALU_DEP_1) | instskip(NEXT) | instid1(VALU_DEP_1)
	v_mul_f64 v[45:46], v[15:16], v[43:44]
	v_add_f64 v[47:48], v[15:16], v[45:46]
	v_fma_f64 v[43:44], v[15:16], v[43:44], -v[45:46]
	s_delay_alu instid0(VALU_DEP_2) | instskip(NEXT) | instid1(VALU_DEP_2)
	v_add_f64 v[15:16], v[47:48], -v[15:16]
	v_add_f64 v[17:18], v[17:18], v[43:44]
	s_delay_alu instid0(VALU_DEP_2) | instskip(NEXT) | instid1(VALU_DEP_1)
	v_add_f64 v[15:16], v[45:46], -v[15:16]
	v_add_f64 v[15:16], v[17:18], v[15:16]
	s_delay_alu instid0(VALU_DEP_1) | instskip(NEXT) | instid1(VALU_DEP_1)
	v_add_f64 v[17:18], v[47:48], v[15:16]
	v_rcp_f64_e32 v[43:44], v[17:18]
	s_waitcnt_depctr 0xfff
	v_fma_f64 v[45:46], -v[17:18], v[43:44], 1.0
	s_delay_alu instid0(VALU_DEP_1) | instskip(NEXT) | instid1(VALU_DEP_1)
	v_fma_f64 v[43:44], v[45:46], v[43:44], v[43:44]
	v_fma_f64 v[45:46], -v[17:18], v[43:44], 1.0
	s_delay_alu instid0(VALU_DEP_1) | instskip(SKIP_1) | instid1(VALU_DEP_2)
	v_fma_f64 v[43:44], v[45:46], v[43:44], v[43:44]
	v_add_f64 v[45:46], v[17:18], -v[47:48]
	v_mul_f64 v[47:48], v[17:18], v[43:44]
	s_delay_alu instid0(VALU_DEP_2) | instskip(NEXT) | instid1(VALU_DEP_2)
	v_add_f64 v[15:16], v[15:16], -v[45:46]
	v_fma_f64 v[45:46], v[43:44], v[17:18], -v[47:48]
	s_delay_alu instid0(VALU_DEP_1) | instskip(NEXT) | instid1(VALU_DEP_1)
	v_fma_f64 v[15:16], v[43:44], v[15:16], v[45:46]
	v_add_f64 v[45:46], v[47:48], v[15:16]
	s_delay_alu instid0(VALU_DEP_1) | instskip(SKIP_1) | instid1(VALU_DEP_2)
	v_add_f64 v[49:50], -v[45:46], 1.0
	v_add_f64 v[47:48], v[45:46], -v[47:48]
	v_add_f64 v[51:52], -v[49:50], 1.0
	s_delay_alu instid0(VALU_DEP_2) | instskip(NEXT) | instid1(VALU_DEP_2)
	v_add_f64 v[15:16], v[47:48], -v[15:16]
	v_add_f64 v[45:46], v[51:52], -v[45:46]
	s_delay_alu instid0(VALU_DEP_1) | instskip(NEXT) | instid1(VALU_DEP_1)
	v_add_f64 v[15:16], v[15:16], v[45:46]
	v_add_f64 v[15:16], v[49:50], v[15:16]
	s_delay_alu instid0(VALU_DEP_1) | instskip(NEXT) | instid1(VALU_DEP_1)
	v_mul_f64 v[15:16], v[43:44], v[15:16]
	v_add_f64 v[15:16], v[43:44], v[15:16]
	s_delay_alu instid0(VALU_DEP_1) | instskip(NEXT) | instid1(VALU_DEP_2)
	v_xor_b32_e32 v3, 0x80000000, v16
	v_cndmask_b32_e32 v11, v15, v17, vcc_lo
	s_delay_alu instid0(VALU_DEP_2) | instskip(NEXT) | instid1(VALU_DEP_1)
	v_cndmask_b32_e32 v3, v3, v18, vcc_lo
	v_xor_b32_e32 v4, v3, v4
	s_delay_alu instid0(VALU_DEP_3) | instskip(NEXT) | instid1(VALU_DEP_2)
	v_cndmask_b32_e64 v3, 0, v11, s0
	v_cndmask_b32_e64 v4, 0x7ff80000, v4, s0
	s_delay_alu instid0(VALU_DEP_1)
	v_fma_f64 v[3:4], s[20:21], v[3:4], s[14:15]
	global_store_b64 v7, v[3:4], s[12:13]
.LBB1_38:                               ;   in Loop: Header=BB1_9 Depth=1
	s_or_b32 exec_lo, exec_lo, s81
	v_add_co_u32 v15, vcc_lo, v12, s33
	v_add_co_ci_u32_e32 v16, vcc_lo, 0, v13, vcc_lo
	s_mov_b32 s81, exec_lo
	s_delay_alu instid0(VALU_DEP_1)
	v_cmpx_gt_i64_e64 s[16:17], v[15:16]
	s_cbranch_execz .LBB1_8
; %bb.39:                               ;   in Loop: Header=BB1_9 Depth=1
	s_and_not1_b32 vcc_lo, exec_lo, s11
	s_cbranch_vccnz .LBB1_45
; %bb.40:                               ;   in Loop: Header=BB1_9 Depth=1
	v_mov_b32_e32 v3, 0
	s_and_not1_b32 vcc_lo, exec_lo, s76
	s_cbranch_vccnz .LBB1_49
; %bb.41:                               ;   in Loop: Header=BB1_9 Depth=1
	s_and_not1_b32 vcc_lo, exec_lo, s78
	s_mov_b32 s0, 0
	s_cbranch_vccnz .LBB1_46
; %bb.42:                               ;   in Loop: Header=BB1_9 Depth=1
	v_dual_mov_b32 v3, 0 :: v_dual_mov_b32 v4, v15
	s_mov_b64 s[70:71], s[18:19]
	s_mov_b64 s[72:73], s[36:37]
.LBB1_43:                               ;   Parent Loop BB1_9 Depth=1
                                        ; =>  This Inner Loop Header: Depth=2
	s_clause 0x1
	s_load_b256 s[84:91], s[70:71], 0x4
	s_load_b128 s[92:95], s[70:71], 0x24
	s_load_b128 s[96:99], s[72:73], 0x0
	s_add_u32 s70, s70, 48
	s_addc_u32 s71, s71, 0
	s_add_i32 s0, s0, 4
	s_add_u32 s72, s72, 16
	s_addc_u32 s73, s73, 0
	s_cmp_eq_u32 s79, s0
	s_waitcnt lgkmcnt(0)
	v_mul_hi_u32 v7, s85, v4
	s_delay_alu instid0(VALU_DEP_1) | instskip(NEXT) | instid1(VALU_DEP_1)
	v_add_nc_u32_e32 v7, v4, v7
	v_lshrrev_b32_e32 v7, s86, v7
	s_delay_alu instid0(VALU_DEP_1) | instskip(SKIP_1) | instid1(VALU_DEP_2)
	v_mul_hi_u32 v11, s88, v7
	v_mul_lo_u32 v18, v7, s84
	v_add_nc_u32_e32 v11, v7, v11
	s_delay_alu instid0(VALU_DEP_2) | instskip(NEXT) | instid1(VALU_DEP_2)
	v_sub_nc_u32_e32 v18, v4, v18
	v_lshrrev_b32_e32 v11, s89, v11
	s_delay_alu instid0(VALU_DEP_2) | instskip(NEXT) | instid1(VALU_DEP_2)
	v_mul_lo_u32 v18, v18, s96
	v_mul_hi_u32 v16, s91, v11
	v_mul_lo_u32 v42, v11, s87
	s_delay_alu instid0(VALU_DEP_2) | instskip(NEXT) | instid1(VALU_DEP_2)
	v_add_nc_u32_e32 v16, v11, v16
	v_sub_nc_u32_e32 v7, v7, v42
	s_delay_alu instid0(VALU_DEP_2) | instskip(NEXT) | instid1(VALU_DEP_2)
	v_lshrrev_b32_e32 v16, s92, v16
	v_mul_lo_u32 v7, v7, s97
	s_delay_alu instid0(VALU_DEP_2) | instskip(NEXT) | instid1(VALU_DEP_2)
	v_mul_hi_u32 v17, s94, v16
	v_add3_u32 v3, v18, v3, v7
	s_delay_alu instid0(VALU_DEP_2) | instskip(NEXT) | instid1(VALU_DEP_1)
	v_add_nc_u32_e32 v17, v16, v17
	v_lshrrev_b32_e32 v4, s95, v17
	v_mul_lo_u32 v17, v16, s90
	s_delay_alu instid0(VALU_DEP_2) | instskip(NEXT) | instid1(VALU_DEP_2)
	v_mul_lo_u32 v43, v4, s93
	v_sub_nc_u32_e32 v11, v11, v17
	s_delay_alu instid0(VALU_DEP_2) | instskip(NEXT) | instid1(VALU_DEP_2)
	v_sub_nc_u32_e32 v16, v16, v43
	v_mul_lo_u32 v11, v11, s98
	s_delay_alu instid0(VALU_DEP_2) | instskip(NEXT) | instid1(VALU_DEP_1)
	v_mul_lo_u32 v16, v16, s99
	v_add3_u32 v3, v11, v3, v16
	s_cbranch_scc0 .LBB1_43
; %bb.44:                               ;   in Loop: Header=BB1_9 Depth=1
	s_mov_b32 s0, s79
	s_and_not1_b32 vcc_lo, exec_lo, s80
	s_cbranch_vccz .LBB1_47
	s_branch .LBB1_49
.LBB1_45:                               ;   in Loop: Header=BB1_9 Depth=1
                                        ; implicit-def: $vgpr3
	s_branch .LBB1_50
.LBB1_46:                               ;   in Loop: Header=BB1_9 Depth=1
	v_mov_b32_e32 v4, v15
	s_and_not1_b32 vcc_lo, exec_lo, s80
	s_cbranch_vccnz .LBB1_49
.LBB1_47:                               ;   in Loop: Header=BB1_9 Depth=1
	s_lshl_b32 s26, s0, 2
	s_mul_i32 s0, s0, 12
	s_add_u32 s70, s36, s26
	s_addc_u32 s71, s37, 0
	s_add_u32 s72, s18, s0
	s_addc_u32 s73, s19, 0
	s_mov_b32 s0, s77
	.p2align	6
.LBB1_48:                               ;   Parent Loop BB1_9 Depth=1
                                        ; =>  This Inner Loop Header: Depth=2
	s_clause 0x1
	s_load_b64 s[82:83], s[72:73], 0x4
	s_load_b32 s26, s[72:73], 0xc
	s_load_b32 s67, s[70:71], 0x0
	s_add_u32 s72, s72, 12
	s_addc_u32 s73, s73, 0
	s_add_u32 s70, s70, 4
	s_addc_u32 s71, s71, 0
	s_add_i32 s0, s0, -1
	s_delay_alu instid0(SALU_CYCLE_1) | instskip(SKIP_2) | instid1(VALU_DEP_1)
	s_cmp_lg_u32 s0, 0
	s_waitcnt lgkmcnt(0)
	v_mul_hi_u32 v7, s83, v4
	v_add_nc_u32_e32 v7, v4, v7
	s_delay_alu instid0(VALU_DEP_1) | instskip(NEXT) | instid1(VALU_DEP_1)
	v_lshrrev_b32_e32 v7, s26, v7
	v_mul_lo_u32 v11, v7, s82
	s_delay_alu instid0(VALU_DEP_1) | instskip(NEXT) | instid1(VALU_DEP_1)
	v_sub_nc_u32_e32 v4, v4, v11
	v_mad_u64_u32 v[16:17], null, v4, s67, v[3:4]
	s_delay_alu instid0(VALU_DEP_1)
	v_dual_mov_b32 v4, v7 :: v_dual_mov_b32 v3, v16
	s_cbranch_scc1 .LBB1_48
.LBB1_49:                               ;   in Loop: Header=BB1_9 Depth=1
	s_cbranch_execnz .LBB1_52
.LBB1_50:                               ;   in Loop: Header=BB1_9 Depth=1
	v_mul_hi_u32 v3, v15, s6
	s_and_not1_b32 vcc_lo, exec_lo, s4
	s_delay_alu instid0(VALU_DEP_1) | instskip(NEXT) | instid1(VALU_DEP_1)
	v_add_nc_u32_e32 v3, v3, v15
	v_lshrrev_b32_e32 v4, s7, v3
	s_delay_alu instid0(VALU_DEP_1) | instskip(NEXT) | instid1(VALU_DEP_1)
	v_mul_lo_u32 v3, v4, s5
	v_sub_nc_u32_e32 v3, v15, v3
	s_delay_alu instid0(VALU_DEP_1)
	v_mul_lo_u32 v3, v3, s22
	s_cbranch_vccnz .LBB1_52
; %bb.51:                               ;   in Loop: Header=BB1_9 Depth=1
	v_mul_hi_u32 v7, s9, v4
	s_delay_alu instid0(VALU_DEP_1) | instskip(NEXT) | instid1(VALU_DEP_1)
	v_add_nc_u32_e32 v7, v4, v7
	v_lshrrev_b32_e32 v7, s10, v7
	s_delay_alu instid0(VALU_DEP_1) | instskip(NEXT) | instid1(VALU_DEP_1)
	v_mul_lo_u32 v7, v7, s8
	v_sub_nc_u32_e32 v4, v4, v7
	s_delay_alu instid0(VALU_DEP_1) | instskip(NEXT) | instid1(VALU_DEP_1)
	v_mad_u64_u32 v[15:16], null, v4, s23, v[3:4]
	v_mov_b32_e32 v3, v15
.LBB1_52:                               ;   in Loop: Header=BB1_9 Depth=1
	v_lshrrev_b32_e32 v4, 11, v6
                                        ; implicit-def: $vgpr17
                                        ; implicit-def: $vgpr15_vgpr16
	s_mov_b32 s26, exec_lo
	s_delay_alu instid0(VALU_DEP_1) | instskip(SKIP_1) | instid1(VALU_DEP_2)
	v_cvt_f64_u32_e32 v[6:7], v4
	v_cvt_f64_u32_e32 v[4:5], v5
	v_ldexp_f64 v[6:7], v[6:7], 32
	s_delay_alu instid0(VALU_DEP_1) | instskip(NEXT) | instid1(VALU_DEP_1)
	v_add_f64 v[4:5], v[6:7], v[4:5]
                                        ; implicit-def: $vgpr6_vgpr7
	v_fma_f64 v[4:5], 0x3ca00000, v[4:5], 0x3ca00000
	s_delay_alu instid0(VALU_DEP_1) | instskip(NEXT) | instid1(VALU_DEP_1)
	v_add_f64 v[4:5], v[4:5], -0.5
	v_mul_f64 v[4:5], v[4:5], s[24:25]
	s_delay_alu instid0(VALU_DEP_1)
	v_cmpx_ngt_f64_e64 0x41d00000, |v[4:5]|
	s_xor_b32 s68, exec_lo, s26
	s_cbranch_execz .LBB1_54
; %bb.53:                               ;   in Loop: Header=BB1_9 Depth=1
	v_ldexp_f64 v[6:7], |v[4:5]|, 0xffffff80
	v_cmp_le_f64_e64 vcc_lo, 0x7b000000, |v[4:5]|
	v_trig_preop_f64 v[15:16], |v[4:5]|, 0
	v_and_b32_e32 v11, 0x7fffffff, v5
	v_trig_preop_f64 v[17:18], |v[4:5]|, 1
	v_trig_preop_f64 v[50:51], |v[4:5]|, 2
	s_mov_b32 s26, s24
	s_mov_b32 s67, s1
	v_dual_cndmask_b32 v6, v4, v6 :: v_dual_cndmask_b32 v7, v11, v7
	s_delay_alu instid0(VALU_DEP_1) | instskip(NEXT) | instid1(VALU_DEP_4)
	v_mul_f64 v[42:43], v[15:16], v[6:7]
	v_mul_f64 v[44:45], v[17:18], v[6:7]
	s_delay_alu instid0(VALU_DEP_2) | instskip(NEXT) | instid1(VALU_DEP_2)
	v_fma_f64 v[15:16], v[15:16], v[6:7], -v[42:43]
	v_fma_f64 v[17:18], v[17:18], v[6:7], -v[44:45]
	s_delay_alu instid0(VALU_DEP_2) | instskip(NEXT) | instid1(VALU_DEP_1)
	v_add_f64 v[46:47], v[44:45], v[15:16]
	v_add_f64 v[48:49], v[46:47], -v[44:45]
	v_add_f64 v[54:55], v[42:43], v[46:47]
	s_delay_alu instid0(VALU_DEP_2) | instskip(SKIP_1) | instid1(VALU_DEP_3)
	v_add_f64 v[52:53], v[46:47], -v[48:49]
	v_add_f64 v[15:16], v[15:16], -v[48:49]
	v_ldexp_f64 v[48:49], v[54:55], -2
	v_add_f64 v[42:43], v[54:55], -v[42:43]
	s_delay_alu instid0(VALU_DEP_4) | instskip(NEXT) | instid1(VALU_DEP_3)
	v_add_f64 v[44:45], v[44:45], -v[52:53]
	v_cmp_neq_f64_e64 vcc_lo, 0x7ff00000, |v[48:49]|
	s_delay_alu instid0(VALU_DEP_3) | instskip(NEXT) | instid1(VALU_DEP_3)
	v_add_f64 v[42:43], v[46:47], -v[42:43]
	v_add_f64 v[15:16], v[15:16], v[44:45]
	v_fract_f64_e32 v[44:45], v[48:49]
	s_delay_alu instid0(VALU_DEP_1) | instskip(SKIP_1) | instid1(VALU_DEP_3)
	v_cndmask_b32_e32 v44, 0, v44, vcc_lo
	v_mul_f64 v[56:57], v[50:51], v[6:7]
	v_cndmask_b32_e32 v45, 0, v45, vcc_lo
	s_delay_alu instid0(VALU_DEP_1) | instskip(NEXT) | instid1(VALU_DEP_3)
	v_ldexp_f64 v[44:45], v[44:45], 2
	v_add_f64 v[52:53], v[56:57], v[17:18]
	v_fma_f64 v[6:7], v[50:51], v[6:7], -v[56:57]
	s_delay_alu instid0(VALU_DEP_2) | instskip(NEXT) | instid1(VALU_DEP_1)
	v_add_f64 v[46:47], v[52:53], v[15:16]
	v_add_f64 v[48:49], v[42:43], v[46:47]
	v_add_f64 v[58:59], v[46:47], -v[52:53]
	s_delay_alu instid0(VALU_DEP_2) | instskip(NEXT) | instid1(VALU_DEP_2)
	v_add_f64 v[54:55], v[48:49], v[44:45]
	v_add_f64 v[64:65], v[46:47], -v[58:59]
	v_add_f64 v[15:16], v[15:16], -v[58:59]
	;; [unrolled: 1-line block ×3, first 2 shown]
	s_delay_alu instid0(VALU_DEP_4) | instskip(SKIP_2) | instid1(VALU_DEP_2)
	v_cmp_gt_f64_e32 vcc_lo, 0, v[54:55]
	v_add_f64 v[54:55], v[52:53], -v[56:57]
	v_cndmask_b32_e64 v11, 0, 0x40100000, vcc_lo
	v_add_f64 v[62:63], v[52:53], -v[54:55]
	v_add_f64 v[17:18], v[17:18], -v[54:55]
	;; [unrolled: 1-line block ×3, first 2 shown]
	s_delay_alu instid0(VALU_DEP_4) | instskip(NEXT) | instid1(VALU_DEP_4)
	v_add_f64 v[44:45], v[44:45], v[10:11]
	v_add_f64 v[54:55], v[56:57], -v[62:63]
	s_delay_alu instid0(VALU_DEP_3) | instskip(NEXT) | instid1(VALU_DEP_3)
	v_add_f64 v[15:16], v[15:16], v[52:53]
	v_add_f64 v[60:61], v[48:49], v[44:45]
	s_delay_alu instid0(VALU_DEP_3) | instskip(NEXT) | instid1(VALU_DEP_2)
	v_add_f64 v[17:18], v[17:18], v[54:55]
	v_cvt_i32_f64_e32 v11, v[60:61]
	s_delay_alu instid0(VALU_DEP_2) | instskip(SKIP_1) | instid1(VALU_DEP_3)
	v_add_f64 v[15:16], v[17:18], v[15:16]
	v_add_f64 v[17:18], v[46:47], -v[42:43]
	v_cvt_f64_i32_e32 v[58:59], v11
	s_delay_alu instid0(VALU_DEP_3) | instskip(NEXT) | instid1(VALU_DEP_2)
	v_add_f64 v[6:7], v[6:7], v[15:16]
	v_add_f64 v[44:45], v[44:45], -v[58:59]
	s_delay_alu instid0(VALU_DEP_2) | instskip(NEXT) | instid1(VALU_DEP_2)
	v_add_f64 v[6:7], v[17:18], v[6:7]
	v_add_f64 v[50:51], v[48:49], v[44:45]
	s_delay_alu instid0(VALU_DEP_1) | instskip(SKIP_1) | instid1(VALU_DEP_2)
	v_add_f64 v[15:16], v[50:51], -v[44:45]
	v_cmp_le_f64_e32 vcc_lo, 0.5, v[50:51]
	v_add_f64 v[15:16], v[48:49], -v[15:16]
	v_add_co_ci_u32_e64 v17, s0, 0, v11, vcc_lo
	v_cndmask_b32_e64 v11, 0, 0x3ff00000, vcc_lo
	s_delay_alu instid0(VALU_DEP_3) | instskip(NEXT) | instid1(VALU_DEP_2)
	v_add_f64 v[6:7], v[6:7], v[15:16]
	v_add_f64 v[15:16], v[50:51], -v[10:11]
	s_delay_alu instid0(VALU_DEP_1) | instskip(NEXT) | instid1(VALU_DEP_1)
	v_add_f64 v[42:43], v[15:16], v[6:7]
	v_mul_f64 v[44:45], v[42:43], s[26:27]
	v_add_f64 v[15:16], v[42:43], -v[15:16]
	s_delay_alu instid0(VALU_DEP_2) | instskip(NEXT) | instid1(VALU_DEP_2)
	v_fma_f64 v[46:47], v[42:43], s[26:27], -v[44:45]
	v_add_f64 v[6:7], v[6:7], -v[15:16]
	s_delay_alu instid0(VALU_DEP_2) | instskip(NEXT) | instid1(VALU_DEP_1)
	v_fma_f64 v[15:16], v[42:43], s[66:67], v[46:47]
	v_fma_f64 v[15:16], v[6:7], s[26:27], v[15:16]
	s_delay_alu instid0(VALU_DEP_1) | instskip(NEXT) | instid1(VALU_DEP_1)
	v_add_f64 v[6:7], v[44:45], v[15:16]
	v_add_f64 v[42:43], v[6:7], -v[44:45]
	s_delay_alu instid0(VALU_DEP_1)
	v_add_f64 v[15:16], v[15:16], -v[42:43]
.LBB1_54:                               ;   in Loop: Header=BB1_9 Depth=1
	s_and_not1_saveexec_b32 s26, s68
	s_cbranch_execz .LBB1_7
; %bb.55:                               ;   in Loop: Header=BB1_9 Depth=1
	v_mul_f64 v[6:7], |v[4:5]|, s[28:29]
	s_mov_b32 s68, s24
	s_mov_b32 s0, s30
	s_delay_alu instid0(VALU_DEP_1) | instskip(NEXT) | instid1(VALU_DEP_1)
	v_rndne_f64_e32 v[17:18], v[6:7]
	v_fma_f64 v[6:7], v[17:18], s[68:69], |v[4:5]|
	v_mul_f64 v[15:16], v[17:18], s[30:31]
	s_delay_alu instid0(VALU_DEP_2) | instskip(NEXT) | instid1(VALU_DEP_2)
	v_fma_f64 v[44:45], v[17:18], s[30:31], v[6:7]
	v_add_f64 v[42:43], v[6:7], v[15:16]
	s_delay_alu instid0(VALU_DEP_1) | instskip(NEXT) | instid1(VALU_DEP_3)
	v_add_f64 v[6:7], v[6:7], -v[42:43]
	v_add_f64 v[42:43], v[42:43], -v[44:45]
	s_delay_alu instid0(VALU_DEP_2) | instskip(SKIP_1) | instid1(VALU_DEP_2)
	v_add_f64 v[6:7], v[6:7], v[15:16]
	v_fma_f64 v[15:16], v[17:18], s[0:1], v[15:16]
	v_add_f64 v[6:7], v[42:43], v[6:7]
	s_delay_alu instid0(VALU_DEP_1) | instskip(NEXT) | instid1(VALU_DEP_1)
	v_add_f64 v[6:7], v[6:7], -v[15:16]
	v_fma_f64 v[15:16], v[17:18], s[34:35], v[6:7]
	v_cvt_i32_f64_e32 v17, v[17:18]
	s_delay_alu instid0(VALU_DEP_2) | instskip(NEXT) | instid1(VALU_DEP_1)
	v_add_f64 v[6:7], v[44:45], v[15:16]
	v_add_f64 v[42:43], v[6:7], -v[44:45]
	s_delay_alu instid0(VALU_DEP_1)
	v_add_f64 v[15:16], v[15:16], -v[42:43]
	s_branch .LBB1_7
.LBB1_56:
	s_endpgm
.LBB1_57:
                                        ; implicit-def: $sgpr2_sgpr3
	s_branch .LBB1_4
	.section	.rodata,"a",@progbits
	.p2align	6, 0x0
	.amdhsa_kernel _ZN2at6native12_GLOBAL__N_143distribution_elementwise_grid_stride_kernelIdLi2EZNS0_9templates4cuda21uniform_and_transformIddPNS_17CUDAGeneratorImplEZZZNS4_13cauchy_kernelIS7_EEvRNS_18TensorIteratorBaseEddT_ENKUlvE_clEvENKUlvE_clEvEUldE_EEvSA_T1_T2_EUlP25hiprandStatePhilox4_32_10E_ZNS1_27distribution_nullary_kernelIdd15HIP_vector_typeIdLj2EES7_SJ_SE_EEvSA_SG_RKT3_T4_EUlidE0_EEvlNS_15PhiloxCudaStateESF_SG_
		.amdhsa_group_segment_fixed_size 0
		.amdhsa_private_segment_fixed_size 0
		.amdhsa_kernarg_size 592
		.amdhsa_user_sgpr_count 15
		.amdhsa_user_sgpr_dispatch_ptr 0
		.amdhsa_user_sgpr_queue_ptr 0
		.amdhsa_user_sgpr_kernarg_segment_ptr 1
		.amdhsa_user_sgpr_dispatch_id 0
		.amdhsa_user_sgpr_private_segment_size 0
		.amdhsa_wavefront_size32 1
		.amdhsa_uses_dynamic_stack 0
		.amdhsa_enable_private_segment 0
		.amdhsa_system_sgpr_workgroup_id_x 1
		.amdhsa_system_sgpr_workgroup_id_y 0
		.amdhsa_system_sgpr_workgroup_id_z 0
		.amdhsa_system_sgpr_workgroup_info 0
		.amdhsa_system_vgpr_workitem_id 0
		.amdhsa_next_free_vgpr 68
		.amdhsa_next_free_sgpr 100
		.amdhsa_reserve_vcc 1
		.amdhsa_float_round_mode_32 0
		.amdhsa_float_round_mode_16_64 0
		.amdhsa_float_denorm_mode_32 3
		.amdhsa_float_denorm_mode_16_64 3
		.amdhsa_dx10_clamp 1
		.amdhsa_ieee_mode 1
		.amdhsa_fp16_overflow 0
		.amdhsa_workgroup_processor_mode 1
		.amdhsa_memory_ordered 1
		.amdhsa_forward_progress 0
		.amdhsa_shared_vgpr_count 0
		.amdhsa_exception_fp_ieee_invalid_op 0
		.amdhsa_exception_fp_denorm_src 0
		.amdhsa_exception_fp_ieee_div_zero 0
		.amdhsa_exception_fp_ieee_overflow 0
		.amdhsa_exception_fp_ieee_underflow 0
		.amdhsa_exception_fp_ieee_inexact 0
		.amdhsa_exception_int_div_zero 0
	.end_amdhsa_kernel
	.section	.text._ZN2at6native12_GLOBAL__N_143distribution_elementwise_grid_stride_kernelIdLi2EZNS0_9templates4cuda21uniform_and_transformIddPNS_17CUDAGeneratorImplEZZZNS4_13cauchy_kernelIS7_EEvRNS_18TensorIteratorBaseEddT_ENKUlvE_clEvENKUlvE_clEvEUldE_EEvSA_T1_T2_EUlP25hiprandStatePhilox4_32_10E_ZNS1_27distribution_nullary_kernelIdd15HIP_vector_typeIdLj2EES7_SJ_SE_EEvSA_SG_RKT3_T4_EUlidE0_EEvlNS_15PhiloxCudaStateESF_SG_,"axG",@progbits,_ZN2at6native12_GLOBAL__N_143distribution_elementwise_grid_stride_kernelIdLi2EZNS0_9templates4cuda21uniform_and_transformIddPNS_17CUDAGeneratorImplEZZZNS4_13cauchy_kernelIS7_EEvRNS_18TensorIteratorBaseEddT_ENKUlvE_clEvENKUlvE_clEvEUldE_EEvSA_T1_T2_EUlP25hiprandStatePhilox4_32_10E_ZNS1_27distribution_nullary_kernelIdd15HIP_vector_typeIdLj2EES7_SJ_SE_EEvSA_SG_RKT3_T4_EUlidE0_EEvlNS_15PhiloxCudaStateESF_SG_,comdat
.Lfunc_end1:
	.size	_ZN2at6native12_GLOBAL__N_143distribution_elementwise_grid_stride_kernelIdLi2EZNS0_9templates4cuda21uniform_and_transformIddPNS_17CUDAGeneratorImplEZZZNS4_13cauchy_kernelIS7_EEvRNS_18TensorIteratorBaseEddT_ENKUlvE_clEvENKUlvE_clEvEUldE_EEvSA_T1_T2_EUlP25hiprandStatePhilox4_32_10E_ZNS1_27distribution_nullary_kernelIdd15HIP_vector_typeIdLj2EES7_SJ_SE_EEvSA_SG_RKT3_T4_EUlidE0_EEvlNS_15PhiloxCudaStateESF_SG_, .Lfunc_end1-_ZN2at6native12_GLOBAL__N_143distribution_elementwise_grid_stride_kernelIdLi2EZNS0_9templates4cuda21uniform_and_transformIddPNS_17CUDAGeneratorImplEZZZNS4_13cauchy_kernelIS7_EEvRNS_18TensorIteratorBaseEddT_ENKUlvE_clEvENKUlvE_clEvEUldE_EEvSA_T1_T2_EUlP25hiprandStatePhilox4_32_10E_ZNS1_27distribution_nullary_kernelIdd15HIP_vector_typeIdLj2EES7_SJ_SE_EEvSA_SG_RKT3_T4_EUlidE0_EEvlNS_15PhiloxCudaStateESF_SG_
                                        ; -- End function
	.section	.AMDGPU.csdata,"",@progbits
; Kernel info:
; codeLenInByte = 7124
; NumSgprs: 102
; NumVgprs: 68
; ScratchSize: 0
; MemoryBound: 0
; FloatMode: 240
; IeeeMode: 1
; LDSByteSize: 0 bytes/workgroup (compile time only)
; SGPRBlocks: 12
; VGPRBlocks: 8
; NumSGPRsForWavesPerEU: 102
; NumVGPRsForWavesPerEU: 68
; Occupancy: 16
; WaveLimiterHint : 1
; COMPUTE_PGM_RSRC2:SCRATCH_EN: 0
; COMPUTE_PGM_RSRC2:USER_SGPR: 15
; COMPUTE_PGM_RSRC2:TRAP_HANDLER: 0
; COMPUTE_PGM_RSRC2:TGID_X_EN: 1
; COMPUTE_PGM_RSRC2:TGID_Y_EN: 0
; COMPUTE_PGM_RSRC2:TGID_Z_EN: 0
; COMPUTE_PGM_RSRC2:TIDIG_COMP_CNT: 0
	.section	.text._ZN2at6native12_GLOBAL__N_143distribution_elementwise_grid_stride_kernelIdLi2EZNS0_9templates4cuda21uniform_and_transformIddPNS_17CUDAGeneratorImplEZZZNS4_13cauchy_kernelIS7_EEvRNS_18TensorIteratorBaseEddT_ENKUlvE_clEvENKUlvE_clEvEUldE_EEvSA_T1_T2_EUlP25hiprandStatePhilox4_32_10E0_ZNS1_27distribution_nullary_kernelIdd15HIP_vector_typeIfLj4EES7_SJ_SE_EEvSA_SG_RKT3_T4_EUlidE_EEvlNS_15PhiloxCudaStateESF_SG_,"axG",@progbits,_ZN2at6native12_GLOBAL__N_143distribution_elementwise_grid_stride_kernelIdLi2EZNS0_9templates4cuda21uniform_and_transformIddPNS_17CUDAGeneratorImplEZZZNS4_13cauchy_kernelIS7_EEvRNS_18TensorIteratorBaseEddT_ENKUlvE_clEvENKUlvE_clEvEUldE_EEvSA_T1_T2_EUlP25hiprandStatePhilox4_32_10E0_ZNS1_27distribution_nullary_kernelIdd15HIP_vector_typeIfLj4EES7_SJ_SE_EEvSA_SG_RKT3_T4_EUlidE_EEvlNS_15PhiloxCudaStateESF_SG_,comdat
	.globl	_ZN2at6native12_GLOBAL__N_143distribution_elementwise_grid_stride_kernelIdLi2EZNS0_9templates4cuda21uniform_and_transformIddPNS_17CUDAGeneratorImplEZZZNS4_13cauchy_kernelIS7_EEvRNS_18TensorIteratorBaseEddT_ENKUlvE_clEvENKUlvE_clEvEUldE_EEvSA_T1_T2_EUlP25hiprandStatePhilox4_32_10E0_ZNS1_27distribution_nullary_kernelIdd15HIP_vector_typeIfLj4EES7_SJ_SE_EEvSA_SG_RKT3_T4_EUlidE_EEvlNS_15PhiloxCudaStateESF_SG_ ; -- Begin function _ZN2at6native12_GLOBAL__N_143distribution_elementwise_grid_stride_kernelIdLi2EZNS0_9templates4cuda21uniform_and_transformIddPNS_17CUDAGeneratorImplEZZZNS4_13cauchy_kernelIS7_EEvRNS_18TensorIteratorBaseEddT_ENKUlvE_clEvENKUlvE_clEvEUldE_EEvSA_T1_T2_EUlP25hiprandStatePhilox4_32_10E0_ZNS1_27distribution_nullary_kernelIdd15HIP_vector_typeIfLj4EES7_SJ_SE_EEvSA_SG_RKT3_T4_EUlidE_EEvlNS_15PhiloxCudaStateESF_SG_
	.p2align	8
	.type	_ZN2at6native12_GLOBAL__N_143distribution_elementwise_grid_stride_kernelIdLi2EZNS0_9templates4cuda21uniform_and_transformIddPNS_17CUDAGeneratorImplEZZZNS4_13cauchy_kernelIS7_EEvRNS_18TensorIteratorBaseEddT_ENKUlvE_clEvENKUlvE_clEvEUldE_EEvSA_T1_T2_EUlP25hiprandStatePhilox4_32_10E0_ZNS1_27distribution_nullary_kernelIdd15HIP_vector_typeIfLj4EES7_SJ_SE_EEvSA_SG_RKT3_T4_EUlidE_EEvlNS_15PhiloxCudaStateESF_SG_,@function
_ZN2at6native12_GLOBAL__N_143distribution_elementwise_grid_stride_kernelIdLi2EZNS0_9templates4cuda21uniform_and_transformIddPNS_17CUDAGeneratorImplEZZZNS4_13cauchy_kernelIS7_EEvRNS_18TensorIteratorBaseEddT_ENKUlvE_clEvENKUlvE_clEvEUldE_EEvSA_T1_T2_EUlP25hiprandStatePhilox4_32_10E0_ZNS1_27distribution_nullary_kernelIdd15HIP_vector_typeIfLj4EES7_SJ_SE_EEvSA_SG_RKT3_T4_EUlidE_EEvlNS_15PhiloxCudaStateESF_SG_: ; @_ZN2at6native12_GLOBAL__N_143distribution_elementwise_grid_stride_kernelIdLi2EZNS0_9templates4cuda21uniform_and_transformIddPNS_17CUDAGeneratorImplEZZZNS4_13cauchy_kernelIS7_EEvRNS_18TensorIteratorBaseEddT_ENKUlvE_clEvENKUlvE_clEvEUldE_EEvSA_T1_T2_EUlP25hiprandStatePhilox4_32_10E0_ZNS1_27distribution_nullary_kernelIdd15HIP_vector_typeIfLj4EES7_SJ_SE_EEvSA_SG_RKT3_T4_EUlidE_EEvlNS_15PhiloxCudaStateESF_SG_
; %bb.0:
	s_clause 0x2
	s_load_b64 s[8:9], s[0:1], 0x10
	s_load_b128 s[4:7], s[0:1], 0x0
	s_load_b32 s2, s[0:1], 0x20
	s_waitcnt lgkmcnt(0)
	v_dual_mov_b32 v2, s8 :: v_dual_mov_b32 v3, s9
	v_dual_mov_b32 v8, s7 :: v_dual_mov_b32 v7, s6
	s_bitcmp0_b32 s2, 0
	s_mov_b32 s2, 0
	s_cbranch_scc1 .LBB2_2
; %bb.1:
	v_dual_mov_b32 v1, s8 :: v_dual_mov_b32 v2, s9
	v_dual_mov_b32 v4, s6 :: v_dual_mov_b32 v5, s7
	s_load_b64 s[6:7], s[0:1], 0x18
	flat_load_b64 v[2:3], v[1:2]
	flat_load_b64 v[7:8], v[4:5]
	s_waitcnt vmcnt(1) lgkmcnt(0)
	v_add_co_u32 v2, vcc_lo, v2, s6
	v_add_co_ci_u32_e32 v3, vcc_lo, s7, v3, vcc_lo
.LBB2_2:
	s_clause 0x1
	s_load_b32 s3, s[0:1], 0x5c
	s_load_b32 s36, s[0:1], 0x50
	s_waitcnt lgkmcnt(0)
	s_and_b32 s14, s3, 0xffff
	s_add_u32 s6, s4, -1
	s_mul_i32 s33, s36, s14
	s_addc_u32 s3, s5, -1
	s_lshl_b32 s56, s33, 1
	s_cmp_lg_u64 s[2:3], 0
	s_cbranch_scc0 .LBB2_31
; %bb.3:
	v_cvt_f32_ubyte0_e32 v1, 0
	v_cvt_f32_u32_e32 v4, s56
	s_sub_u32 s8, 0, s56
	s_subb_u32 s9, 0, 0
	s_delay_alu instid0(VALU_DEP_1) | instskip(NEXT) | instid1(VALU_DEP_1)
	v_fmamk_f32 v1, v1, 0x4f800000, v4
	v_rcp_f32_e32 v1, v1
	s_waitcnt_depctr 0xfff
	v_mul_f32_e32 v1, 0x5f7ffffc, v1
	s_delay_alu instid0(VALU_DEP_1) | instskip(NEXT) | instid1(VALU_DEP_1)
	v_mul_f32_e32 v4, 0x2f800000, v1
	v_trunc_f32_e32 v4, v4
	s_delay_alu instid0(VALU_DEP_1) | instskip(SKIP_1) | instid1(VALU_DEP_2)
	v_fmamk_f32 v1, v4, 0xcf800000, v1
	v_cvt_u32_f32_e32 v4, v4
	v_cvt_u32_f32_e32 v1, v1
	s_delay_alu instid0(VALU_DEP_2) | instskip(NEXT) | instid1(VALU_DEP_2)
	v_readfirstlane_b32 s2, v4
	v_readfirstlane_b32 s7, v1
	s_delay_alu instid0(VALU_DEP_2) | instskip(NEXT) | instid1(VALU_DEP_1)
	s_mul_i32 s10, s8, s2
	s_mul_hi_u32 s12, s8, s7
	s_mul_i32 s11, s9, s7
	s_add_i32 s10, s12, s10
	s_mul_i32 s13, s8, s7
	s_add_i32 s10, s10, s11
	s_mul_hi_u32 s12, s7, s13
	s_mul_hi_u32 s16, s2, s13
	s_mul_i32 s11, s2, s13
	s_mul_hi_u32 s13, s7, s10
	s_mul_i32 s7, s7, s10
	s_mul_hi_u32 s17, s2, s10
	s_add_u32 s7, s12, s7
	s_addc_u32 s12, 0, s13
	s_add_u32 s7, s7, s11
	s_mul_i32 s10, s2, s10
	s_addc_u32 s7, s12, s16
	s_addc_u32 s11, s17, 0
	s_add_u32 s7, s7, s10
	s_addc_u32 s10, 0, s11
	v_add_co_u32 v1, s7, v1, s7
	s_delay_alu instid0(VALU_DEP_1) | instskip(SKIP_1) | instid1(VALU_DEP_1)
	s_cmp_lg_u32 s7, 0
	s_addc_u32 s2, s2, s10
	v_readfirstlane_b32 s7, v1
	s_mul_i32 s10, s8, s2
	s_delay_alu instid0(VALU_DEP_1)
	s_mul_hi_u32 s11, s8, s7
	s_mul_i32 s9, s9, s7
	s_add_i32 s10, s11, s10
	s_mul_i32 s8, s8, s7
	s_add_i32 s10, s10, s9
	s_mul_hi_u32 s11, s2, s8
	s_mul_i32 s12, s2, s8
	s_mul_hi_u32 s8, s7, s8
	s_mul_hi_u32 s13, s7, s10
	s_mul_i32 s7, s7, s10
	s_mul_hi_u32 s9, s2, s10
	s_add_u32 s7, s8, s7
	s_addc_u32 s8, 0, s13
	s_add_u32 s7, s7, s12
	s_mul_i32 s10, s2, s10
	s_addc_u32 s7, s8, s11
	s_addc_u32 s8, s9, 0
	s_add_u32 s7, s7, s10
	s_addc_u32 s8, 0, s8
	v_add_co_u32 v1, s7, v1, s7
	s_delay_alu instid0(VALU_DEP_1) | instskip(SKIP_2) | instid1(VALU_DEP_1)
	s_cmp_lg_u32 s7, 0
	s_addc_u32 s7, s2, s8
	s_ashr_i32 s8, s3, 31
	v_readfirstlane_b32 s10, v1
	s_add_u32 s2, s6, s8
	s_mov_b32 s9, s8
	s_addc_u32 s3, s3, s8
	s_delay_alu instid0(SALU_CYCLE_1) | instskip(NEXT) | instid1(SALU_CYCLE_1)
	s_xor_b64 s[2:3], s[2:3], s[8:9]
	s_mul_i32 s12, s2, s7
	s_mul_hi_u32 s13, s2, s10
	s_mul_hi_u32 s11, s2, s7
	;; [unrolled: 1-line block ×3, first 2 shown]
	s_mul_i32 s10, s3, s10
	s_add_u32 s12, s13, s12
	s_addc_u32 s11, 0, s11
	s_mul_hi_u32 s16, s3, s7
	s_add_u32 s10, s12, s10
	s_mul_i32 s7, s3, s7
	s_addc_u32 s10, s11, s17
	s_addc_u32 s11, s16, 0
	s_add_u32 s7, s10, s7
	s_addc_u32 s10, 0, s11
	s_mul_i32 s12, s56, s7
	s_add_u32 s11, s7, 1
	v_sub_co_u32 v1, s2, s2, s12
	s_mul_hi_u32 s12, s56, s7
	s_addc_u32 s13, s10, 0
	s_mul_i32 s16, s56, s10
	s_delay_alu instid0(VALU_DEP_1)
	v_sub_co_u32 v4, s17, v1, s56
	s_add_u32 s18, s7, 2
	s_addc_u32 s19, s10, 0
	s_add_i32 s12, s12, s16
	s_cmp_lg_u32 s2, 0
	v_readfirstlane_b32 s2, v4
	s_subb_u32 s3, s3, s12
	s_cmp_lg_u32 s17, 0
	s_subb_u32 s12, s3, 0
	s_delay_alu instid0(VALU_DEP_1) | instskip(SKIP_4) | instid1(SALU_CYCLE_1)
	s_cmp_ge_u32 s2, s56
	s_cselect_b32 s2, -1, 0
	s_cmp_eq_u32 s12, 0
	v_readfirstlane_b32 s12, v1
	s_cselect_b32 s2, s2, -1
	s_cmp_lg_u32 s2, 0
	s_cselect_b32 s2, s18, s11
	s_cselect_b32 s11, s19, s13
	s_cmp_ge_u32 s12, s56
	s_cselect_b32 s12, -1, 0
	s_cmp_eq_u32 s3, 0
	s_cselect_b32 s3, s12, -1
	s_delay_alu instid0(SALU_CYCLE_1) | instskip(SKIP_2) | instid1(SALU_CYCLE_1)
	s_cmp_lg_u32 s3, 0
	s_cselect_b32 s3, s11, s10
	s_cselect_b32 s2, s2, s7
	s_xor_b64 s[2:3], s[2:3], s[8:9]
	s_delay_alu instid0(SALU_CYCLE_1)
	s_sub_u32 s2, s2, s8
	s_subb_u32 s3, s3, s8
	s_cbranch_execnz .LBB2_5
.LBB2_4:
	v_cvt_f32_u32_e32 v1, s56
	s_sub_i32 s3, 0, s56
	s_delay_alu instid0(VALU_DEP_1) | instskip(SKIP_2) | instid1(VALU_DEP_1)
	v_rcp_iflag_f32_e32 v1, v1
	s_waitcnt_depctr 0xfff
	v_mul_f32_e32 v1, 0x4f7ffffe, v1
	v_cvt_u32_f32_e32 v1, v1
	s_delay_alu instid0(VALU_DEP_1) | instskip(NEXT) | instid1(VALU_DEP_1)
	v_readfirstlane_b32 s2, v1
	s_mul_i32 s3, s3, s2
	s_delay_alu instid0(SALU_CYCLE_1) | instskip(NEXT) | instid1(SALU_CYCLE_1)
	s_mul_hi_u32 s3, s2, s3
	s_add_i32 s2, s2, s3
	s_delay_alu instid0(SALU_CYCLE_1) | instskip(NEXT) | instid1(SALU_CYCLE_1)
	s_mul_hi_u32 s2, s6, s2
	s_mul_i32 s3, s2, s56
	s_delay_alu instid0(SALU_CYCLE_1)
	s_sub_i32 s3, s6, s3
	s_add_i32 s6, s2, 1
	s_sub_i32 s7, s3, s56
	s_cmp_ge_u32 s3, s56
	s_cselect_b32 s2, s6, s2
	s_cselect_b32 s3, s7, s3
	s_add_i32 s6, s2, 1
	s_cmp_ge_u32 s3, s56
	s_mov_b32 s3, 0
	s_cselect_b32 s2, s6, s2
.LBB2_5:
	v_mov_b32_e32 v9, 0
	s_add_u32 s2, s2, 1
	s_addc_u32 s3, s3, 0
	s_mul_hi_u32 s6, s36, s14
	s_mul_hi_u32 s7, s33, s2
	v_mov_b32_e32 v1, v9
	s_mul_i32 s3, s33, s3
	s_mul_i32 s6, s6, s2
	s_add_i32 s3, s7, s3
	s_mul_i32 s2, s33, s2
	v_mad_u64_u32 v[11:12], null, s14, s15, v[0:1]
	s_add_i32 s3, s3, s6
	s_mov_b32 s6, exec_lo
	s_lshl_b64 s[2:3], s[2:3], 1
	s_delay_alu instid0(VALU_DEP_1) | instid1(SALU_CYCLE_1)
	v_cmpx_gt_i64_e64 s[2:3], v[11:12]
	s_cbranch_execz .LBB2_30
; %bb.6:
	v_alignbit_b32 v18, v3, v2, 2
	v_mad_u64_u32 v[13:14], null, 0xcd9e8d57, v11, 0
	v_lshrrev_b32_e32 v19, 2, v3
	s_waitcnt vmcnt(0)
	v_dual_mov_b32 v10, v8 :: v_dual_add_nc_u32 v25, 0x8ff34781, v7
	v_mad_u64_u32 v[4:5], null, 0xd2511f53, v18, 0
	v_add_co_u32 v21, null, 0x9e3779b9, v7
	v_xor3_b32 v3, v7, v14, v19
	s_delay_alu instid0(VALU_DEP_4) | instskip(SKIP_2) | instid1(VALU_DEP_4)
	v_add_co_u32 v20, null, 0xbb67ae85, v10
	v_add_co_u32 v22, null, 0x3c6ef372, v7
	v_xor_b32_e32 v1, v5, v8
	v_mad_u64_u32 v[5:6], null, 0xd2511f53, v3, 0
	v_add_co_u32 v23, null, 0x76cf5d0a, v10
	s_delay_alu instid0(VALU_DEP_3) | instskip(SKIP_2) | instid1(VALU_DEP_3)
	v_xor_b32_e32 v1, v1, v12
	v_dual_mov_b32 v41, v11 :: v_dual_and_b32 v24, 3, v2
	v_add_co_u32 v27, null, 0xdaa66d2b, v7
	v_mad_u64_u32 v[14:15], null, 0xcd9e8d57, v1, 0
	v_xor3_b32 v1, v20, v6, v4
	v_add_co_u32 v28, null, 0x32370b8f, v10
	v_add_co_u32 v31, null, 0x78dde6e4, v7
	s_delay_alu instid0(VALU_DEP_3) | instskip(SKIP_3) | instid1(VALU_DEP_3)
	v_mad_u64_u32 v[3:4], null, 0xcd9e8d57, v1, 0
	v_xor3_b32 v6, v21, v15, v13
	v_add_co_u32 v32, null, 0xed9eba14, v10
	v_add_co_u32 v30, null, 0x1715609d, v7
	v_mad_u64_u32 v[15:16], null, 0xd2511f53, v6, 0
	v_xor3_b32 v4, v22, v4, v14
	v_add_co_u32 v35, null, 0xa9066899, v10
	v_add_co_u32 v33, null, 0xb54cda56, v7
	s_delay_alu instid0(VALU_DEP_3) | instskip(SKIP_3) | instid1(VALU_DEP_3)
	v_mad_u64_u32 v[1:2], null, 0xd2511f53, v4, 0
	v_xor3_b32 v6, v23, v16, v5
	v_add_co_u32 v36, null, 0x646e171e, v10
	v_add_co_u32 v29, null, 0x5384540f, v7
	v_mad_u64_u32 v[4:5], null, 0xcd9e8d57, v6, 0
	v_xor3_b32 v6, v28, v2, v15
	v_add_co_u32 v37, null, 0x1fd5c5a3, v10
	s_clause 0x1
	s_load_b64 s[6:7], s[0:1], 0x30
	s_load_b32 s37, s[0:1], 0x38
	v_add_co_u32 v34, null, 0xf1bbcdc8, v7
	s_delay_alu instid0(VALU_DEP_4) | instskip(SKIP_2) | instid1(VALU_DEP_3)
	v_xor3_b32 v13, v27, v5, v3
	v_mad_u64_u32 v[2:3], null, 0xcd9e8d57, v6, 0
	v_add_co_u32 v38, null, 0xdb3d7428, v10
	v_mad_u64_u32 v[5:6], null, 0xd2511f53, v13, 0
	s_load_b128 s[8:11], s[0:1], 0x40
	s_add_i32 s0, s15, s36
	s_delay_alu instid0(VALU_DEP_3) | instskip(SKIP_3) | instid1(VALU_DEP_4)
	v_xor3_b32 v13, v31, v3, v4
	v_add_nc_u32_e32 v26, 0x96a522ad, v8
	v_mov_b32_e32 v42, v12
	s_mov_b32 s12, 0x54442d18
	v_xor3_b32 v1, v32, v6, v1
	v_mad_u64_u32 v[3:4], null, 0xd2511f53, v13, 0
	s_mov_b32 s16, 0x6dc9c883
	s_mov_b32 s18, 0x33145c00
	s_delay_alu instid0(VALU_DEP_2) | instskip(SKIP_1) | instid1(VALU_DEP_3)
	v_mad_u64_u32 v[13:14], null, 0xcd9e8d57, v1, 0
	v_mad_u64_u32 v[15:16], null, s15, s14, v[0:1]
	v_xor3_b32 v4, v35, v4, v5
	s_mov_b32 s20, 0x252049c0
	s_mov_b32 s22, 0xa9a29f71
	;; [unrolled: 1-line block ×3, first 2 shown]
	s_delay_alu instid0(VALU_DEP_3)
	v_xor3_b32 v6, v30, v14, v2
	v_mad_u64_u32 v[1:2], null, 0xcd9e8d57, v4, 0
	s_waitcnt lgkmcnt(0)
	v_mul_lo_u32 v39, s37, v15
	s_mov_b32 s26, 0x90a8aae0
	v_mad_u64_u32 v[4:5], null, 0xd2511f53, v6, 0
	s_mov_b32 s28, 0xa6fbf144
	s_mov_b32 s30, 0xa7943acf
	s_delay_alu instid0(VALU_DEP_3) | instskip(SKIP_3) | instid1(VALU_DEP_2)
	v_xor3_b32 v6, v33, v2, v13
	s_mov_b32 s34, 0xdeb68feb
	s_mov_b32 s38, 0x15120e2c
	s_mov_b32 s40, 0xe09491df
	v_xor3_b32 v13, v36, v5, v3
	v_mad_u64_u32 v[2:3], null, 0xd2511f53, v6, 0
	s_mov_b32 s42, 0x2033784d
	s_mov_b32 s44, 0x9ac36ae2
	s_delay_alu instid0(VALU_DEP_2) | instskip(SKIP_2) | instid1(VALU_DEP_2)
	v_mad_u64_u32 v[5:6], null, 0xcd9e8d57, v13, 0
	s_mov_b32 s46, 0x1b451c21
	s_mov_b32 s48, 0x111185b7
	v_xor3_b32 v13, v37, v3, v4
	s_mov_b32 s50, 0x555554ee
	s_mov_b32 s57, 0
	;; [unrolled: 1-line block ×3, first 2 shown]
	s_delay_alu instid0(VALU_DEP_2) | instskip(SKIP_3) | instid1(VALU_DEP_2)
	v_xor3_b32 v1, v29, v6, v1
	v_mad_u64_u32 v[3:4], null, 0xcd9e8d57, v13, 0
	s_mov_b32 s1, 0x3ff921fb
	s_mov_b32 s15, 0x3c91a626
	v_mad_u64_u32 v[13:14], null, 0xd2511f53, v1, 0
	s_mov_b32 s17, 0x3fe45f30
	s_mov_b32 s19, 0xbc91a626
	s_delay_alu instid0(VALU_DEP_2) | instskip(SKIP_3) | instid1(VALU_DEP_2)
	v_xor3_b32 v4, v34, v4, v5
	s_mov_b32 s21, 0xb97b839a
	s_mov_b32 s23, 0xbf078809
	;; [unrolled: 1-line block ×3, first 2 shown]
	v_xor3_b32 v6, v38, v14, v2
	v_mad_u64_u32 v[1:2], null, s0, s14, v[0:1]
	v_mad_u64_u32 v[16:17], null, 0xd2511f53, v4, 0
	s_delay_alu instid0(VALU_DEP_3) | instskip(SKIP_2) | instid1(VALU_DEP_3)
	v_mad_u64_u32 v[4:5], null, 0xcd9e8d57, v6, 0
	s_mul_i32 s0, s36, s37
	s_mov_b32 s27, 0x3f17746f
	v_mul_lo_u32 v40, s37, v1
	s_mul_i32 s0, s0, s14
	s_delay_alu instid0(VALU_DEP_3) | instskip(SKIP_1) | instid1(VALU_DEP_3)
	v_mov_b32_e32 v6, v16
	s_mov_b32 s36, 0xb58c4d95
	v_xor3_b32 v3, v5, v3, v25
	v_xor3_b32 v5, v17, v13, v26
	s_mov_b32 s29, 0xbefbb44d
	s_mov_b32 s31, 0x3f21e634
	s_mov_b32 s35, 0x3f2d250f
	s_lshl_b32 s58, s0, 1
	s_mov_b32 s37, 0x3f437fd9
	s_mov_b32 s39, 0x3f57d5af
	;; [unrolled: 1-line block ×11, first 2 shown]
	s_branch .LBB2_9
.LBB2_7:                                ;   in Loop: Header=BB2_9 Depth=1
	s_or_b32 exec_lo, exec_lo, s0
	v_mul_f64 v[43:44], v[5:6], v[5:6]
	s_delay_alu instid0(VALU_DEP_2) | instskip(SKIP_2) | instid1(VALU_DEP_4)
	v_add_f64 v[45:46], v[14:15], v[14:15]
	v_cmp_class_f64_e64 s0, v[3:4], 0x1f8
	v_and_b32_e32 v4, 0x80000000, v4
	v_fma_f64 v[47:48], v[5:6], v[5:6], -v[43:44]
	s_delay_alu instid0(VALU_DEP_1) | instskip(NEXT) | instid1(VALU_DEP_1)
	v_fma_f64 v[45:46], v[5:6], v[45:46], v[47:48]
	v_add_f64 v[43:44], v[43:44], v[45:46]
	s_delay_alu instid0(VALU_DEP_1) | instskip(NEXT) | instid1(VALU_DEP_1)
	v_fma_f64 v[45:46], v[43:44], s[24:25], s[22:23]
	v_fma_f64 v[45:46], v[43:44], v[45:46], s[26:27]
	s_delay_alu instid0(VALU_DEP_1) | instskip(NEXT) | instid1(VALU_DEP_1)
	v_fma_f64 v[45:46], v[43:44], v[45:46], s[28:29]
	v_fma_f64 v[45:46], v[43:44], v[45:46], s[30:31]
	;; [unrolled: 3-line block ×6, first 2 shown]
	s_delay_alu instid0(VALU_DEP_1) | instskip(NEXT) | instid1(VALU_DEP_1)
	v_fma_f64 v[45:46], v[43:44], v[45:46], s[50:51]
	v_mul_f64 v[43:44], v[43:44], v[45:46]
	s_delay_alu instid0(VALU_DEP_1) | instskip(NEXT) | instid1(VALU_DEP_1)
	v_mul_f64 v[45:46], v[5:6], v[43:44]
	v_add_f64 v[47:48], v[5:6], v[45:46]
	v_fma_f64 v[43:44], v[5:6], v[43:44], -v[45:46]
	s_delay_alu instid0(VALU_DEP_2) | instskip(NEXT) | instid1(VALU_DEP_2)
	v_add_f64 v[5:6], v[47:48], -v[5:6]
	v_add_f64 v[14:15], v[14:15], v[43:44]
	s_delay_alu instid0(VALU_DEP_2) | instskip(NEXT) | instid1(VALU_DEP_1)
	v_add_f64 v[5:6], v[45:46], -v[5:6]
	v_add_f64 v[5:6], v[14:15], v[5:6]
	s_delay_alu instid0(VALU_DEP_1) | instskip(NEXT) | instid1(VALU_DEP_1)
	v_add_f64 v[14:15], v[47:48], v[5:6]
	v_rcp_f64_e32 v[43:44], v[14:15]
	s_waitcnt_depctr 0xfff
	v_fma_f64 v[45:46], -v[14:15], v[43:44], 1.0
	s_delay_alu instid0(VALU_DEP_1) | instskip(NEXT) | instid1(VALU_DEP_1)
	v_fma_f64 v[43:44], v[45:46], v[43:44], v[43:44]
	v_fma_f64 v[45:46], -v[14:15], v[43:44], 1.0
	s_delay_alu instid0(VALU_DEP_1) | instskip(SKIP_1) | instid1(VALU_DEP_2)
	v_fma_f64 v[43:44], v[45:46], v[43:44], v[43:44]
	v_add_f64 v[45:46], v[14:15], -v[47:48]
	v_mul_f64 v[47:48], v[14:15], v[43:44]
	s_delay_alu instid0(VALU_DEP_2) | instskip(NEXT) | instid1(VALU_DEP_2)
	v_add_f64 v[5:6], v[5:6], -v[45:46]
	v_fma_f64 v[45:46], v[43:44], v[14:15], -v[47:48]
	s_delay_alu instid0(VALU_DEP_1) | instskip(NEXT) | instid1(VALU_DEP_1)
	v_fma_f64 v[5:6], v[43:44], v[5:6], v[45:46]
	v_add_f64 v[45:46], v[47:48], v[5:6]
	s_delay_alu instid0(VALU_DEP_1) | instskip(SKIP_1) | instid1(VALU_DEP_2)
	v_add_f64 v[49:50], -v[45:46], 1.0
	v_add_f64 v[47:48], v[45:46], -v[47:48]
	v_add_f64 v[51:52], -v[49:50], 1.0
	s_delay_alu instid0(VALU_DEP_2) | instskip(NEXT) | instid1(VALU_DEP_2)
	v_add_f64 v[5:6], v[47:48], -v[5:6]
	v_add_f64 v[45:46], v[51:52], -v[45:46]
	s_delay_alu instid0(VALU_DEP_1) | instskip(NEXT) | instid1(VALU_DEP_1)
	v_add_f64 v[5:6], v[5:6], v[45:46]
	v_add_f64 v[5:6], v[49:50], v[5:6]
	s_delay_alu instid0(VALU_DEP_1) | instskip(NEXT) | instid1(VALU_DEP_1)
	v_mul_f64 v[5:6], v[43:44], v[5:6]
	v_add_f64 v[5:6], v[43:44], v[5:6]
	v_and_b32_e32 v10, 1, v16
	s_delay_alu instid0(VALU_DEP_1) | instskip(NEXT) | instid1(VALU_DEP_3)
	v_cmp_eq_u32_e32 vcc_lo, 0, v10
	v_cndmask_b32_e32 v5, v5, v14, vcc_lo
	s_delay_alu instid0(VALU_DEP_4) | instskip(NEXT) | instid1(VALU_DEP_1)
	v_xor_b32_e32 v3, 0x80000000, v6
	v_cndmask_b32_e32 v3, v3, v15, vcc_lo
	s_delay_alu instid0(VALU_DEP_1) | instskip(NEXT) | instid1(VALU_DEP_4)
	v_xor_b32_e32 v4, v3, v4
	v_cndmask_b32_e64 v3, 0, v5, s0
	v_add_nc_u32_e32 v5, s59, v40
	s_delay_alu instid0(VALU_DEP_3) | instskip(NEXT) | instid1(VALU_DEP_2)
	v_cndmask_b32_e64 v4, 0x7ff80000, v4, s0
	v_ashrrev_i32_e32 v6, 31, v5
	v_add_co_u32 v5, vcc_lo, s6, v5
	s_delay_alu instid0(VALU_DEP_3) | instskip(NEXT) | instid1(VALU_DEP_3)
	v_fma_f64 v[3:4], s[10:11], v[3:4], s[8:9]
	v_add_co_ci_u32_e32 v6, vcc_lo, s7, v6, vcc_lo
	global_store_b64 v[5:6], v[3:4], off
.LBB2_8:                                ;   in Loop: Header=BB2_9 Depth=1
	s_or_b32 exec_lo, exec_lo, s60
	v_add_co_u32 v11, vcc_lo, v11, s56
	v_add_co_ci_u32_e32 v12, vcc_lo, 0, v12, vcc_lo
	v_mov_b32_e32 v3, v13
	s_add_i32 s59, s59, s58
	s_waitcnt_vscnt null, 0x0
	s_delay_alu instid0(VALU_DEP_2)
	v_cmp_le_i64_e32 vcc_lo, s[2:3], v[11:12]
	s_barrier
	v_mov_b32_e32 v6, v3
	v_dual_mov_b32 v5, v2 :: v_dual_mov_b32 v4, v1
	v_mov_b32_e32 v3, v0
	s_or_b32 s57, vcc_lo, s57
	buffer_gl0_inv
	s_and_not1_b32 exec_lo, exec_lo, s57
	s_cbranch_execz .LBB2_30
.LBB2_9:                                ; =>This Inner Loop Header: Depth=1
	v_add_co_u32 v18, vcc_lo, v18, 1
	s_delay_alu instid0(VALU_DEP_1) | instskip(SKIP_2) | instid1(VALU_DEP_1)
	v_cndmask_b32_e64 v0, 0, 1, vcc_lo
	v_add_co_ci_u32_e32 v19, vcc_lo, 0, v19, vcc_lo
	s_mov_b32 s0, exec_lo
	v_cmp_eq_u32_e32 vcc_lo, 0, v19
	s_delay_alu instid0(VALU_DEP_3) | instskip(NEXT) | instid1(VALU_DEP_1)
	v_cndmask_b32_e32 v0, 0, v0, vcc_lo
	v_add_nc_u32_e32 v41, v0, v41
	s_delay_alu instid0(VALU_DEP_1) | instskip(SKIP_2) | instid1(VALU_DEP_2)
	v_cmp_eq_u32_e32 vcc_lo, 0, v41
	v_cndmask_b32_e32 v0, 0, v0, vcc_lo
	v_mad_u64_u32 v[13:14], null, 0xcd9e8d57, v41, 0
	v_add_nc_u32_e32 v42, v0, v42
	v_mad_u64_u32 v[0:1], null, 0xd2511f53, v18, 0
	s_delay_alu instid0(VALU_DEP_3) | instskip(NEXT) | instid1(VALU_DEP_2)
	v_xor3_b32 v16, v14, v7, v19
	v_xor_b32_e32 v1, v1, v8
	s_delay_alu instid0(VALU_DEP_2) | instskip(NEXT) | instid1(VALU_DEP_2)
	v_mad_u64_u32 v[14:15], null, 0xd2511f53, v16, 0
	v_xor_b32_e32 v10, v42, v1
	s_delay_alu instid0(VALU_DEP_2) | instskip(NEXT) | instid1(VALU_DEP_2)
	v_xor3_b32 v0, v20, v15, v0
	v_mad_u64_u32 v[1:2], null, 0xcd9e8d57, v10, 0
	s_delay_alu instid0(VALU_DEP_2) | instskip(NEXT) | instid1(VALU_DEP_2)
	v_mad_u64_u32 v[43:44], null, 0xcd9e8d57, v0, 0
	v_xor3_b32 v2, v21, v2, v13
	s_delay_alu instid0(VALU_DEP_2) | instskip(NEXT) | instid1(VALU_DEP_2)
	v_xor3_b32 v10, v22, v44, v1
	v_mad_u64_u32 v[15:16], null, 0xd2511f53, v2, 0
	s_delay_alu instid0(VALU_DEP_1) | instskip(NEXT) | instid1(VALU_DEP_3)
	v_xor3_b32 v2, v23, v16, v14
	v_mad_u64_u32 v[13:14], null, 0xd2511f53, v10, 0
	s_delay_alu instid0(VALU_DEP_2) | instskip(NEXT) | instid1(VALU_DEP_2)
	v_mad_u64_u32 v[0:1], null, 0xcd9e8d57, v2, 0
	v_xor3_b32 v16, v28, v14, v15
	s_delay_alu instid0(VALU_DEP_2) | instskip(NEXT) | instid1(VALU_DEP_2)
	v_xor3_b32 v10, v27, v1, v43
	v_mad_u64_u32 v[14:15], null, 0xcd9e8d57, v16, 0
	s_delay_alu instid0(VALU_DEP_2) | instskip(NEXT) | instid1(VALU_DEP_2)
	v_mad_u64_u32 v[1:2], null, 0xd2511f53, v10, 0
	v_xor3_b32 v0, v31, v15, v0
	s_delay_alu instid0(VALU_DEP_2) | instskip(NEXT) | instid1(VALU_DEP_2)
	;; [unrolled: 6-line block ×6, first 2 shown]
	v_xor3_b32 v0, v38, v16, v14
	v_mad_u64_u32 v[13:14], null, 0xd2511f53, v10, 0
	s_delay_alu instid0(VALU_DEP_2) | instskip(NEXT) | instid1(VALU_DEP_1)
	v_mad_u64_u32 v[1:2], null, 0xcd9e8d57, v0, 0
	v_xor3_b32 v0, v2, v43, v25
	s_delay_alu instid0(VALU_DEP_3)
	v_xor3_b32 v2, v14, v15, v26
	v_cmpx_lt_i32_e32 1, v24
	s_xor_b32 s0, exec_lo, s0
	s_cbranch_execnz .LBB2_12
; %bb.10:                               ;   in Loop: Header=BB2_9 Depth=1
	s_and_not1_saveexec_b32 s0, s0
	s_cbranch_execnz .LBB2_17
.LBB2_11:                               ;   in Loop: Header=BB2_9 Depth=1
	s_or_b32 exec_lo, exec_lo, s0
	s_delay_alu instid0(SALU_CYCLE_1)
	s_mov_b32 s60, exec_lo
	v_cmpx_gt_i64_e64 s[4:5], v[11:12]
	s_cbranch_execnz .LBB2_20
	s_branch .LBB2_25
.LBB2_12:                               ;   in Loop: Header=BB2_9 Depth=1
	s_mov_b32 s14, exec_lo
	v_cmpx_lt_i32_e32 2, v24
	s_xor_b32 s14, exec_lo, s14
; %bb.13:                               ;   in Loop: Header=BB2_9 Depth=1
	v_dual_mov_b32 v3, v6 :: v_dual_mov_b32 v4, v0
; %bb.14:                               ;   in Loop: Header=BB2_9 Depth=1
	s_and_not1_saveexec_b32 s14, s14
; %bb.15:                               ;   in Loop: Header=BB2_9 Depth=1
	v_dual_mov_b32 v3, v5 :: v_dual_mov_b32 v4, v6
; %bb.16:                               ;   in Loop: Header=BB2_9 Depth=1
	s_or_b32 exec_lo, exec_lo, s14
	s_and_not1_saveexec_b32 s0, s0
	s_cbranch_execz .LBB2_11
.LBB2_17:                               ;   in Loop: Header=BB2_9 Depth=1
	s_mov_b32 s14, exec_lo
	v_cmpx_eq_u32_e32 1, v24
; %bb.18:                               ;   in Loop: Header=BB2_9 Depth=1
	v_dual_mov_b32 v3, v4 :: v_dual_mov_b32 v4, v5
; %bb.19:                               ;   in Loop: Header=BB2_9 Depth=1
	s_or_b32 exec_lo, exec_lo, s14
	s_delay_alu instid0(SALU_CYCLE_1) | instskip(NEXT) | instid1(SALU_CYCLE_1)
	s_or_b32 exec_lo, exec_lo, s0
	s_mov_b32 s60, exec_lo
	v_cmpx_gt_i64_e64 s[4:5], v[11:12]
	s_cbranch_execz .LBB2_25
.LBB2_20:                               ;   in Loop: Header=BB2_9 Depth=1
	v_cvt_f32_u32_e32 v3, v3
	s_mov_b32 s14, exec_lo
                                        ; implicit-def: $vgpr14_vgpr15
                                        ; implicit-def: $vgpr16_vgpr17
	s_delay_alu instid0(VALU_DEP_1) | instskip(NEXT) | instid1(VALU_DEP_1)
	v_fmaak_f32 v3, 0x2f800000, v3, 0x2f800000
	v_cvt_f64_f32_e32 v[5:6], v3
                                        ; implicit-def: $vgpr3
	s_delay_alu instid0(VALU_DEP_1) | instskip(NEXT) | instid1(VALU_DEP_1)
	v_add_f64 v[5:6], v[5:6], -0.5
	v_mul_f64 v[5:6], v[5:6], s[12:13]
	s_delay_alu instid0(VALU_DEP_1)
	v_cmpx_ngt_f64_e64 0x41d00000, |v[5:6]|
	s_xor_b32 s14, exec_lo, s14
	s_cbranch_execz .LBB2_22
; %bb.21:                               ;   in Loop: Header=BB2_9 Depth=1
	v_ldexp_f64 v[14:15], |v[5:6]|, 0xffffff80
	v_cmp_le_f64_e64 vcc_lo, 0x7b000000, |v[5:6]|
	v_trig_preop_f64 v[16:17], |v[5:6]|, 0
	v_and_b32_e32 v3, 0x7fffffff, v6
	v_trig_preop_f64 v[43:44], |v[5:6]|, 1
	v_trig_preop_f64 v[53:54], |v[5:6]|, 2
	s_mov_b32 s53, s15
	s_delay_alu instid0(VALU_DEP_3) | instskip(NEXT) | instid1(VALU_DEP_1)
	v_dual_cndmask_b32 v15, v3, v15 :: v_dual_cndmask_b32 v14, v5, v14
	v_mul_f64 v[45:46], v[16:17], v[14:15]
	s_delay_alu instid0(VALU_DEP_4) | instskip(NEXT) | instid1(VALU_DEP_4)
	v_mul_f64 v[47:48], v[43:44], v[14:15]
	v_mul_f64 v[59:60], v[53:54], v[14:15]
	s_delay_alu instid0(VALU_DEP_3) | instskip(NEXT) | instid1(VALU_DEP_3)
	v_fma_f64 v[16:17], v[16:17], v[14:15], -v[45:46]
	v_fma_f64 v[43:44], v[43:44], v[14:15], -v[47:48]
	s_delay_alu instid0(VALU_DEP_3) | instskip(NEXT) | instid1(VALU_DEP_3)
	v_fma_f64 v[14:15], v[53:54], v[14:15], -v[59:60]
	v_add_f64 v[49:50], v[47:48], v[16:17]
	s_delay_alu instid0(VALU_DEP_1) | instskip(SKIP_1) | instid1(VALU_DEP_2)
	v_add_f64 v[51:52], v[49:50], -v[47:48]
	v_add_f64 v[57:58], v[45:46], v[49:50]
	v_add_f64 v[55:56], v[49:50], -v[51:52]
	v_add_f64 v[16:17], v[16:17], -v[51:52]
	s_delay_alu instid0(VALU_DEP_3) | instskip(SKIP_1) | instid1(VALU_DEP_4)
	v_ldexp_f64 v[51:52], v[57:58], -2
	v_add_f64 v[45:46], v[57:58], -v[45:46]
	v_add_f64 v[47:48], v[47:48], -v[55:56]
	v_add_f64 v[55:56], v[59:60], v[43:44]
	s_delay_alu instid0(VALU_DEP_4) | instskip(NEXT) | instid1(VALU_DEP_4)
	v_cmp_neq_f64_e64 vcc_lo, 0x7ff00000, |v[51:52]|
	v_add_f64 v[45:46], v[49:50], -v[45:46]
	s_delay_alu instid0(VALU_DEP_4) | instskip(SKIP_1) | instid1(VALU_DEP_2)
	v_add_f64 v[16:17], v[16:17], v[47:48]
	v_fract_f64_e32 v[47:48], v[51:52]
	v_add_f64 v[49:50], v[55:56], v[16:17]
	s_delay_alu instid0(VALU_DEP_2) | instskip(NEXT) | instid1(VALU_DEP_1)
	v_dual_cndmask_b32 v48, 0, v48 :: v_dual_cndmask_b32 v47, 0, v47
	v_ldexp_f64 v[47:48], v[47:48], 2
	s_delay_alu instid0(VALU_DEP_3) | instskip(SKIP_1) | instid1(VALU_DEP_2)
	v_add_f64 v[51:52], v[45:46], v[49:50]
	v_add_f64 v[61:62], v[49:50], -v[55:56]
	v_add_f64 v[57:58], v[51:52], v[47:48]
	s_delay_alu instid0(VALU_DEP_2) | instskip(SKIP_2) | instid1(VALU_DEP_4)
	v_add_f64 v[67:68], v[49:50], -v[61:62]
	v_add_f64 v[16:17], v[16:17], -v[61:62]
	;; [unrolled: 1-line block ×3, first 2 shown]
	v_cmp_gt_f64_e32 vcc_lo, 0, v[57:58]
	v_add_f64 v[57:58], v[55:56], -v[59:60]
	s_delay_alu instid0(VALU_DEP_3) | instskip(SKIP_1) | instid1(VALU_DEP_3)
	v_add_f64 v[45:46], v[49:50], -v[45:46]
	v_cndmask_b32_e64 v10, 0, 0x40100000, vcc_lo
	v_add_f64 v[65:66], v[55:56], -v[57:58]
	v_add_f64 v[43:44], v[43:44], -v[57:58]
	;; [unrolled: 1-line block ×3, first 2 shown]
	s_delay_alu instid0(VALU_DEP_4) | instskip(NEXT) | instid1(VALU_DEP_4)
	v_add_f64 v[47:48], v[47:48], v[9:10]
	v_add_f64 v[57:58], v[59:60], -v[65:66]
	s_delay_alu instid0(VALU_DEP_3) | instskip(NEXT) | instid1(VALU_DEP_3)
	v_add_f64 v[16:17], v[16:17], v[55:56]
	v_add_f64 v[63:64], v[51:52], v[47:48]
	s_delay_alu instid0(VALU_DEP_3) | instskip(NEXT) | instid1(VALU_DEP_2)
	v_add_f64 v[43:44], v[43:44], v[57:58]
	v_cvt_i32_f64_e32 v3, v[63:64]
	s_delay_alu instid0(VALU_DEP_2) | instskip(NEXT) | instid1(VALU_DEP_2)
	v_add_f64 v[16:17], v[43:44], v[16:17]
	v_cvt_f64_i32_e32 v[61:62], v3
	s_delay_alu instid0(VALU_DEP_2) | instskip(NEXT) | instid1(VALU_DEP_2)
	v_add_f64 v[14:15], v[14:15], v[16:17]
	v_add_f64 v[47:48], v[47:48], -v[61:62]
	s_delay_alu instid0(VALU_DEP_2) | instskip(NEXT) | instid1(VALU_DEP_2)
	v_add_f64 v[14:15], v[45:46], v[14:15]
	v_add_f64 v[43:44], v[51:52], v[47:48]
	s_delay_alu instid0(VALU_DEP_1) | instskip(SKIP_1) | instid1(VALU_DEP_2)
	v_add_f64 v[16:17], v[43:44], -v[47:48]
	v_cmp_le_f64_e32 vcc_lo, 0.5, v[43:44]
	v_add_f64 v[16:17], v[51:52], -v[16:17]
	v_cndmask_b32_e64 v10, 0, 0x3ff00000, vcc_lo
	v_add_co_ci_u32_e64 v3, s0, 0, v3, vcc_lo
	s_mov_b32 s0, s12
	s_delay_alu instid0(VALU_DEP_3) | instskip(NEXT) | instid1(VALU_DEP_3)
	v_add_f64 v[14:15], v[14:15], v[16:17]
	v_add_f64 v[16:17], v[43:44], -v[9:10]
	s_delay_alu instid0(VALU_DEP_1) | instskip(NEXT) | instid1(VALU_DEP_1)
	v_add_f64 v[43:44], v[16:17], v[14:15]
	v_mul_f64 v[45:46], v[43:44], s[0:1]
	v_add_f64 v[16:17], v[43:44], -v[16:17]
	s_delay_alu instid0(VALU_DEP_2) | instskip(NEXT) | instid1(VALU_DEP_2)
	v_fma_f64 v[47:48], v[43:44], s[0:1], -v[45:46]
	v_add_f64 v[14:15], v[14:15], -v[16:17]
	s_delay_alu instid0(VALU_DEP_2) | instskip(NEXT) | instid1(VALU_DEP_1)
	v_fma_f64 v[16:17], v[43:44], s[52:53], v[47:48]
	v_fma_f64 v[16:17], v[14:15], s[0:1], v[16:17]
	s_delay_alu instid0(VALU_DEP_1) | instskip(NEXT) | instid1(VALU_DEP_1)
	v_add_f64 v[14:15], v[45:46], v[16:17]
	v_add_f64 v[43:44], v[14:15], -v[45:46]
	s_delay_alu instid0(VALU_DEP_1)
	v_add_f64 v[16:17], v[16:17], -v[43:44]
.LBB2_22:                               ;   in Loop: Header=BB2_9 Depth=1
	s_and_not1_saveexec_b32 s0, s14
	s_cbranch_execz .LBB2_24
; %bb.23:                               ;   in Loop: Header=BB2_9 Depth=1
	v_mul_f64 v[14:15], |v[5:6]|, s[16:17]
	s_mov_b32 s54, s12
	s_mov_b32 s14, s18
	s_delay_alu instid0(VALU_DEP_1) | instskip(NEXT) | instid1(VALU_DEP_1)
	v_rndne_f64_e32 v[43:44], v[14:15]
	v_fma_f64 v[14:15], v[43:44], s[54:55], |v[5:6]|
	v_mul_f64 v[16:17], v[43:44], s[18:19]
	v_cvt_i32_f64_e32 v3, v[43:44]
	s_delay_alu instid0(VALU_DEP_3) | instskip(NEXT) | instid1(VALU_DEP_3)
	v_fma_f64 v[47:48], v[43:44], s[18:19], v[14:15]
	v_add_f64 v[45:46], v[14:15], v[16:17]
	s_delay_alu instid0(VALU_DEP_1) | instskip(NEXT) | instid1(VALU_DEP_3)
	v_add_f64 v[14:15], v[14:15], -v[45:46]
	v_add_f64 v[45:46], v[45:46], -v[47:48]
	s_delay_alu instid0(VALU_DEP_2) | instskip(SKIP_1) | instid1(VALU_DEP_2)
	v_add_f64 v[14:15], v[14:15], v[16:17]
	v_fma_f64 v[16:17], v[43:44], s[14:15], v[16:17]
	v_add_f64 v[14:15], v[45:46], v[14:15]
	s_delay_alu instid0(VALU_DEP_1) | instskip(NEXT) | instid1(VALU_DEP_1)
	v_add_f64 v[14:15], v[14:15], -v[16:17]
	v_fma_f64 v[16:17], v[43:44], s[20:21], v[14:15]
	s_delay_alu instid0(VALU_DEP_1) | instskip(NEXT) | instid1(VALU_DEP_1)
	v_add_f64 v[14:15], v[47:48], v[16:17]
	v_add_f64 v[45:46], v[14:15], -v[47:48]
	s_delay_alu instid0(VALU_DEP_1)
	v_add_f64 v[16:17], v[16:17], -v[45:46]
.LBB2_24:                               ;   in Loop: Header=BB2_9 Depth=1
	s_or_b32 exec_lo, exec_lo, s0
	v_mul_f64 v[43:44], v[14:15], v[14:15]
	s_delay_alu instid0(VALU_DEP_2) | instskip(SKIP_3) | instid1(VALU_DEP_2)
	v_add_f64 v[45:46], v[16:17], v[16:17]
	v_cmp_class_f64_e64 s0, v[5:6], 0x1f8
	v_and_b32_e32 v3, 1, v3
	v_and_b32_e32 v6, 0x80000000, v6
	v_cmp_eq_u32_e32 vcc_lo, 0, v3
	v_fma_f64 v[47:48], v[14:15], v[14:15], -v[43:44]
	s_delay_alu instid0(VALU_DEP_1) | instskip(NEXT) | instid1(VALU_DEP_1)
	v_fma_f64 v[45:46], v[14:15], v[45:46], v[47:48]
	v_add_f64 v[43:44], v[43:44], v[45:46]
	s_delay_alu instid0(VALU_DEP_1) | instskip(NEXT) | instid1(VALU_DEP_1)
	v_fma_f64 v[45:46], v[43:44], s[24:25], s[22:23]
	v_fma_f64 v[45:46], v[43:44], v[45:46], s[26:27]
	s_delay_alu instid0(VALU_DEP_1) | instskip(NEXT) | instid1(VALU_DEP_1)
	v_fma_f64 v[45:46], v[43:44], v[45:46], s[28:29]
	v_fma_f64 v[45:46], v[43:44], v[45:46], s[30:31]
	;; [unrolled: 3-line block ×6, first 2 shown]
	s_delay_alu instid0(VALU_DEP_1) | instskip(NEXT) | instid1(VALU_DEP_1)
	v_fma_f64 v[45:46], v[43:44], v[45:46], s[50:51]
	v_mul_f64 v[43:44], v[43:44], v[45:46]
	s_delay_alu instid0(VALU_DEP_1) | instskip(NEXT) | instid1(VALU_DEP_1)
	v_mul_f64 v[45:46], v[14:15], v[43:44]
	v_add_f64 v[47:48], v[14:15], v[45:46]
	v_fma_f64 v[43:44], v[14:15], v[43:44], -v[45:46]
	s_delay_alu instid0(VALU_DEP_2) | instskip(NEXT) | instid1(VALU_DEP_2)
	v_add_f64 v[14:15], v[47:48], -v[14:15]
	v_add_f64 v[16:17], v[16:17], v[43:44]
	s_delay_alu instid0(VALU_DEP_2) | instskip(NEXT) | instid1(VALU_DEP_1)
	v_add_f64 v[14:15], v[45:46], -v[14:15]
	v_add_f64 v[14:15], v[16:17], v[14:15]
	s_delay_alu instid0(VALU_DEP_1) | instskip(NEXT) | instid1(VALU_DEP_1)
	v_add_f64 v[16:17], v[47:48], v[14:15]
	v_rcp_f64_e32 v[43:44], v[16:17]
	s_waitcnt_depctr 0xfff
	v_fma_f64 v[45:46], -v[16:17], v[43:44], 1.0
	s_delay_alu instid0(VALU_DEP_1) | instskip(NEXT) | instid1(VALU_DEP_1)
	v_fma_f64 v[43:44], v[45:46], v[43:44], v[43:44]
	v_fma_f64 v[45:46], -v[16:17], v[43:44], 1.0
	s_delay_alu instid0(VALU_DEP_1) | instskip(SKIP_1) | instid1(VALU_DEP_2)
	v_fma_f64 v[43:44], v[45:46], v[43:44], v[43:44]
	v_add_f64 v[45:46], v[16:17], -v[47:48]
	v_mul_f64 v[47:48], v[16:17], v[43:44]
	s_delay_alu instid0(VALU_DEP_2) | instskip(NEXT) | instid1(VALU_DEP_2)
	v_add_f64 v[14:15], v[14:15], -v[45:46]
	v_fma_f64 v[45:46], v[43:44], v[16:17], -v[47:48]
	s_delay_alu instid0(VALU_DEP_1) | instskip(NEXT) | instid1(VALU_DEP_1)
	v_fma_f64 v[14:15], v[43:44], v[14:15], v[45:46]
	v_add_f64 v[45:46], v[47:48], v[14:15]
	s_delay_alu instid0(VALU_DEP_1) | instskip(SKIP_1) | instid1(VALU_DEP_2)
	v_add_f64 v[49:50], -v[45:46], 1.0
	v_add_f64 v[47:48], v[45:46], -v[47:48]
	v_add_f64 v[51:52], -v[49:50], 1.0
	s_delay_alu instid0(VALU_DEP_2) | instskip(NEXT) | instid1(VALU_DEP_2)
	v_add_f64 v[14:15], v[47:48], -v[14:15]
	v_add_f64 v[45:46], v[51:52], -v[45:46]
	s_delay_alu instid0(VALU_DEP_1) | instskip(NEXT) | instid1(VALU_DEP_1)
	v_add_f64 v[14:15], v[14:15], v[45:46]
	v_add_f64 v[14:15], v[49:50], v[14:15]
	s_delay_alu instid0(VALU_DEP_1) | instskip(NEXT) | instid1(VALU_DEP_1)
	v_mul_f64 v[14:15], v[43:44], v[14:15]
	v_add_f64 v[14:15], v[43:44], v[14:15]
	s_delay_alu instid0(VALU_DEP_1) | instskip(NEXT) | instid1(VALU_DEP_2)
	v_xor_b32_e32 v5, 0x80000000, v15
	v_cndmask_b32_e32 v3, v14, v16, vcc_lo
	s_delay_alu instid0(VALU_DEP_2) | instskip(NEXT) | instid1(VALU_DEP_1)
	v_cndmask_b32_e32 v5, v5, v17, vcc_lo
	v_xor_b32_e32 v6, v5, v6
	s_delay_alu instid0(VALU_DEP_3) | instskip(SKIP_1) | instid1(VALU_DEP_3)
	v_cndmask_b32_e64 v5, 0, v3, s0
	v_add_nc_u32_e32 v3, s59, v39
	v_cndmask_b32_e64 v6, 0x7ff80000, v6, s0
	s_delay_alu instid0(VALU_DEP_2) | instskip(SKIP_1) | instid1(VALU_DEP_3)
	v_ashrrev_i32_e32 v10, 31, v3
	v_add_co_u32 v14, vcc_lo, s6, v3
	v_fma_f64 v[5:6], s[10:11], v[5:6], s[8:9]
	s_delay_alu instid0(VALU_DEP_3)
	v_add_co_ci_u32_e32 v15, vcc_lo, s7, v10, vcc_lo
	global_store_b64 v[14:15], v[5:6], off
.LBB2_25:                               ;   in Loop: Header=BB2_9 Depth=1
	s_or_b32 exec_lo, exec_lo, s60
	v_add_co_u32 v5, vcc_lo, s33, v11
	v_add_co_ci_u32_e32 v6, vcc_lo, 0, v12, vcc_lo
	s_mov_b32 s60, exec_lo
	s_delay_alu instid0(VALU_DEP_1)
	v_cmpx_gt_i64_e64 s[4:5], v[5:6]
	s_cbranch_execz .LBB2_8
; %bb.26:                               ;   in Loop: Header=BB2_9 Depth=1
	v_cvt_f32_u32_e32 v3, v4
	s_mov_b32 s14, exec_lo
                                        ; implicit-def: $vgpr16
                                        ; implicit-def: $vgpr5_vgpr6
                                        ; implicit-def: $vgpr14_vgpr15
	s_delay_alu instid0(VALU_DEP_1) | instskip(NEXT) | instid1(VALU_DEP_1)
	v_fmaak_f32 v3, 0x2f800000, v3, 0x2f800000
	v_cvt_f64_f32_e32 v[3:4], v3
	s_delay_alu instid0(VALU_DEP_1) | instskip(NEXT) | instid1(VALU_DEP_1)
	v_add_f64 v[3:4], v[3:4], -0.5
	v_mul_f64 v[3:4], v[3:4], s[12:13]
	s_delay_alu instid0(VALU_DEP_1)
	v_cmpx_ngt_f64_e64 0x41d00000, |v[3:4]|
	s_xor_b32 s14, exec_lo, s14
	s_cbranch_execz .LBB2_28
; %bb.27:                               ;   in Loop: Header=BB2_9 Depth=1
	v_ldexp_f64 v[5:6], |v[3:4]|, 0xffffff80
	v_cmp_le_f64_e64 vcc_lo, 0x7b000000, |v[3:4]|
	v_trig_preop_f64 v[14:15], |v[3:4]|, 0
	v_and_b32_e32 v10, 0x7fffffff, v4
	v_trig_preop_f64 v[16:17], |v[3:4]|, 1
	v_trig_preop_f64 v[51:52], |v[3:4]|, 2
	s_mov_b32 s53, s15
	s_delay_alu instid0(VALU_DEP_3) | instskip(NEXT) | instid1(VALU_DEP_1)
	v_dual_cndmask_b32 v5, v3, v5 :: v_dual_cndmask_b32 v6, v10, v6
	v_mul_f64 v[43:44], v[14:15], v[5:6]
	s_delay_alu instid0(VALU_DEP_4) | instskip(NEXT) | instid1(VALU_DEP_2)
	v_mul_f64 v[45:46], v[16:17], v[5:6]
	v_fma_f64 v[14:15], v[14:15], v[5:6], -v[43:44]
	s_delay_alu instid0(VALU_DEP_2) | instskip(NEXT) | instid1(VALU_DEP_2)
	v_fma_f64 v[16:17], v[16:17], v[5:6], -v[45:46]
	v_add_f64 v[47:48], v[45:46], v[14:15]
	s_delay_alu instid0(VALU_DEP_1) | instskip(SKIP_1) | instid1(VALU_DEP_2)
	v_add_f64 v[49:50], v[47:48], -v[45:46]
	v_add_f64 v[55:56], v[43:44], v[47:48]
	v_add_f64 v[53:54], v[47:48], -v[49:50]
	v_add_f64 v[14:15], v[14:15], -v[49:50]
	s_delay_alu instid0(VALU_DEP_3) | instskip(SKIP_1) | instid1(VALU_DEP_4)
	v_ldexp_f64 v[49:50], v[55:56], -2
	v_add_f64 v[43:44], v[55:56], -v[43:44]
	v_add_f64 v[45:46], v[45:46], -v[53:54]
	s_delay_alu instid0(VALU_DEP_3) | instskip(NEXT) | instid1(VALU_DEP_3)
	v_cmp_neq_f64_e64 vcc_lo, 0x7ff00000, |v[49:50]|
	v_add_f64 v[43:44], v[47:48], -v[43:44]
	s_delay_alu instid0(VALU_DEP_3) | instskip(SKIP_1) | instid1(VALU_DEP_1)
	v_add_f64 v[14:15], v[14:15], v[45:46]
	v_fract_f64_e32 v[45:46], v[49:50]
	v_cndmask_b32_e32 v45, 0, v45, vcc_lo
	v_mul_f64 v[57:58], v[51:52], v[5:6]
	s_delay_alu instid0(VALU_DEP_3) | instskip(NEXT) | instid1(VALU_DEP_1)
	v_cndmask_b32_e32 v46, 0, v46, vcc_lo
	v_ldexp_f64 v[45:46], v[45:46], 2
	s_delay_alu instid0(VALU_DEP_3) | instskip(SKIP_1) | instid1(VALU_DEP_2)
	v_add_f64 v[53:54], v[57:58], v[16:17]
	v_fma_f64 v[5:6], v[51:52], v[5:6], -v[57:58]
	v_add_f64 v[47:48], v[53:54], v[14:15]
	s_delay_alu instid0(VALU_DEP_1) | instskip(SKIP_1) | instid1(VALU_DEP_2)
	v_add_f64 v[49:50], v[43:44], v[47:48]
	v_add_f64 v[59:60], v[47:48], -v[53:54]
	v_add_f64 v[55:56], v[49:50], v[45:46]
	s_delay_alu instid0(VALU_DEP_2) | instskip(SKIP_2) | instid1(VALU_DEP_4)
	v_add_f64 v[65:66], v[47:48], -v[59:60]
	v_add_f64 v[14:15], v[14:15], -v[59:60]
	;; [unrolled: 1-line block ×3, first 2 shown]
	v_cmp_gt_f64_e32 vcc_lo, 0, v[55:56]
	v_add_f64 v[55:56], v[53:54], -v[57:58]
	v_cndmask_b32_e64 v10, 0, 0x40100000, vcc_lo
	s_delay_alu instid0(VALU_DEP_2) | instskip(SKIP_2) | instid1(VALU_DEP_4)
	v_add_f64 v[63:64], v[53:54], -v[55:56]
	v_add_f64 v[16:17], v[16:17], -v[55:56]
	;; [unrolled: 1-line block ×3, first 2 shown]
	v_add_f64 v[45:46], v[45:46], v[9:10]
	s_delay_alu instid0(VALU_DEP_4) | instskip(NEXT) | instid1(VALU_DEP_3)
	v_add_f64 v[55:56], v[57:58], -v[63:64]
	v_add_f64 v[14:15], v[14:15], v[53:54]
	s_delay_alu instid0(VALU_DEP_3) | instskip(NEXT) | instid1(VALU_DEP_3)
	v_add_f64 v[61:62], v[49:50], v[45:46]
	v_add_f64 v[16:17], v[16:17], v[55:56]
	s_delay_alu instid0(VALU_DEP_2) | instskip(NEXT) | instid1(VALU_DEP_2)
	v_cvt_i32_f64_e32 v10, v[61:62]
	v_add_f64 v[14:15], v[16:17], v[14:15]
	v_add_f64 v[16:17], v[47:48], -v[43:44]
	s_delay_alu instid0(VALU_DEP_3) | instskip(NEXT) | instid1(VALU_DEP_3)
	v_cvt_f64_i32_e32 v[59:60], v10
	v_add_f64 v[5:6], v[5:6], v[14:15]
	s_delay_alu instid0(VALU_DEP_2) | instskip(NEXT) | instid1(VALU_DEP_2)
	v_add_f64 v[45:46], v[45:46], -v[59:60]
	v_add_f64 v[5:6], v[16:17], v[5:6]
	s_delay_alu instid0(VALU_DEP_2) | instskip(NEXT) | instid1(VALU_DEP_1)
	v_add_f64 v[51:52], v[49:50], v[45:46]
	v_add_f64 v[14:15], v[51:52], -v[45:46]
	v_cmp_le_f64_e32 vcc_lo, 0.5, v[51:52]
	s_delay_alu instid0(VALU_DEP_2) | instskip(SKIP_3) | instid1(VALU_DEP_3)
	v_add_f64 v[14:15], v[49:50], -v[14:15]
	v_add_co_ci_u32_e64 v16, s0, 0, v10, vcc_lo
	v_cndmask_b32_e64 v10, 0, 0x3ff00000, vcc_lo
	s_mov_b32 s0, s12
	v_add_f64 v[5:6], v[5:6], v[14:15]
	s_delay_alu instid0(VALU_DEP_2) | instskip(NEXT) | instid1(VALU_DEP_1)
	v_add_f64 v[14:15], v[51:52], -v[9:10]
	v_add_f64 v[43:44], v[14:15], v[5:6]
	s_delay_alu instid0(VALU_DEP_1) | instskip(SKIP_1) | instid1(VALU_DEP_2)
	v_mul_f64 v[45:46], v[43:44], s[0:1]
	v_add_f64 v[14:15], v[43:44], -v[14:15]
	v_fma_f64 v[47:48], v[43:44], s[0:1], -v[45:46]
	s_delay_alu instid0(VALU_DEP_2) | instskip(NEXT) | instid1(VALU_DEP_2)
	v_add_f64 v[5:6], v[5:6], -v[14:15]
	v_fma_f64 v[14:15], v[43:44], s[52:53], v[47:48]
	s_delay_alu instid0(VALU_DEP_1) | instskip(NEXT) | instid1(VALU_DEP_1)
	v_fma_f64 v[14:15], v[5:6], s[0:1], v[14:15]
	v_add_f64 v[5:6], v[45:46], v[14:15]
	s_delay_alu instid0(VALU_DEP_1) | instskip(NEXT) | instid1(VALU_DEP_1)
	v_add_f64 v[43:44], v[5:6], -v[45:46]
	v_add_f64 v[14:15], v[14:15], -v[43:44]
.LBB2_28:                               ;   in Loop: Header=BB2_9 Depth=1
	s_and_not1_saveexec_b32 s0, s14
	s_cbranch_execz .LBB2_7
; %bb.29:                               ;   in Loop: Header=BB2_9 Depth=1
	v_mul_f64 v[5:6], |v[3:4]|, s[16:17]
	s_mov_b32 s54, s12
	s_mov_b32 s14, s18
	s_delay_alu instid0(VALU_DEP_1) | instskip(NEXT) | instid1(VALU_DEP_1)
	v_rndne_f64_e32 v[16:17], v[5:6]
	v_fma_f64 v[5:6], v[16:17], s[54:55], |v[3:4]|
	v_mul_f64 v[14:15], v[16:17], s[18:19]
	s_delay_alu instid0(VALU_DEP_2) | instskip(NEXT) | instid1(VALU_DEP_2)
	v_fma_f64 v[45:46], v[16:17], s[18:19], v[5:6]
	v_add_f64 v[43:44], v[5:6], v[14:15]
	s_delay_alu instid0(VALU_DEP_1) | instskip(NEXT) | instid1(VALU_DEP_3)
	v_add_f64 v[5:6], v[5:6], -v[43:44]
	v_add_f64 v[43:44], v[43:44], -v[45:46]
	s_delay_alu instid0(VALU_DEP_2) | instskip(SKIP_1) | instid1(VALU_DEP_2)
	v_add_f64 v[5:6], v[5:6], v[14:15]
	v_fma_f64 v[14:15], v[16:17], s[14:15], v[14:15]
	v_add_f64 v[5:6], v[43:44], v[5:6]
	s_delay_alu instid0(VALU_DEP_1) | instskip(NEXT) | instid1(VALU_DEP_1)
	v_add_f64 v[5:6], v[5:6], -v[14:15]
	v_fma_f64 v[14:15], v[16:17], s[20:21], v[5:6]
	v_cvt_i32_f64_e32 v16, v[16:17]
	s_delay_alu instid0(VALU_DEP_2) | instskip(NEXT) | instid1(VALU_DEP_1)
	v_add_f64 v[5:6], v[45:46], v[14:15]
	v_add_f64 v[43:44], v[5:6], -v[45:46]
	s_delay_alu instid0(VALU_DEP_1)
	v_add_f64 v[14:15], v[14:15], -v[43:44]
	s_branch .LBB2_7
.LBB2_30:
	s_endpgm
.LBB2_31:
                                        ; implicit-def: $sgpr2_sgpr3
	s_branch .LBB2_4
	.section	.rodata,"a",@progbits
	.p2align	6, 0x0
	.amdhsa_kernel _ZN2at6native12_GLOBAL__N_143distribution_elementwise_grid_stride_kernelIdLi2EZNS0_9templates4cuda21uniform_and_transformIddPNS_17CUDAGeneratorImplEZZZNS4_13cauchy_kernelIS7_EEvRNS_18TensorIteratorBaseEddT_ENKUlvE_clEvENKUlvE_clEvEUldE_EEvSA_T1_T2_EUlP25hiprandStatePhilox4_32_10E0_ZNS1_27distribution_nullary_kernelIdd15HIP_vector_typeIfLj4EES7_SJ_SE_EEvSA_SG_RKT3_T4_EUlidE_EEvlNS_15PhiloxCudaStateESF_SG_
		.amdhsa_group_segment_fixed_size 0
		.amdhsa_private_segment_fixed_size 0
		.amdhsa_kernarg_size 336
		.amdhsa_user_sgpr_count 15
		.amdhsa_user_sgpr_dispatch_ptr 0
		.amdhsa_user_sgpr_queue_ptr 0
		.amdhsa_user_sgpr_kernarg_segment_ptr 1
		.amdhsa_user_sgpr_dispatch_id 0
		.amdhsa_user_sgpr_private_segment_size 0
		.amdhsa_wavefront_size32 1
		.amdhsa_uses_dynamic_stack 0
		.amdhsa_enable_private_segment 0
		.amdhsa_system_sgpr_workgroup_id_x 1
		.amdhsa_system_sgpr_workgroup_id_y 0
		.amdhsa_system_sgpr_workgroup_id_z 0
		.amdhsa_system_sgpr_workgroup_info 0
		.amdhsa_system_vgpr_workitem_id 0
		.amdhsa_next_free_vgpr 69
		.amdhsa_next_free_sgpr 61
		.amdhsa_reserve_vcc 1
		.amdhsa_float_round_mode_32 0
		.amdhsa_float_round_mode_16_64 0
		.amdhsa_float_denorm_mode_32 3
		.amdhsa_float_denorm_mode_16_64 3
		.amdhsa_dx10_clamp 1
		.amdhsa_ieee_mode 1
		.amdhsa_fp16_overflow 0
		.amdhsa_workgroup_processor_mode 1
		.amdhsa_memory_ordered 1
		.amdhsa_forward_progress 0
		.amdhsa_shared_vgpr_count 0
		.amdhsa_exception_fp_ieee_invalid_op 0
		.amdhsa_exception_fp_denorm_src 0
		.amdhsa_exception_fp_ieee_div_zero 0
		.amdhsa_exception_fp_ieee_overflow 0
		.amdhsa_exception_fp_ieee_underflow 0
		.amdhsa_exception_fp_ieee_inexact 0
		.amdhsa_exception_int_div_zero 0
	.end_amdhsa_kernel
	.section	.text._ZN2at6native12_GLOBAL__N_143distribution_elementwise_grid_stride_kernelIdLi2EZNS0_9templates4cuda21uniform_and_transformIddPNS_17CUDAGeneratorImplEZZZNS4_13cauchy_kernelIS7_EEvRNS_18TensorIteratorBaseEddT_ENKUlvE_clEvENKUlvE_clEvEUldE_EEvSA_T1_T2_EUlP25hiprandStatePhilox4_32_10E0_ZNS1_27distribution_nullary_kernelIdd15HIP_vector_typeIfLj4EES7_SJ_SE_EEvSA_SG_RKT3_T4_EUlidE_EEvlNS_15PhiloxCudaStateESF_SG_,"axG",@progbits,_ZN2at6native12_GLOBAL__N_143distribution_elementwise_grid_stride_kernelIdLi2EZNS0_9templates4cuda21uniform_and_transformIddPNS_17CUDAGeneratorImplEZZZNS4_13cauchy_kernelIS7_EEvRNS_18TensorIteratorBaseEddT_ENKUlvE_clEvENKUlvE_clEvEUldE_EEvSA_T1_T2_EUlP25hiprandStatePhilox4_32_10E0_ZNS1_27distribution_nullary_kernelIdd15HIP_vector_typeIfLj4EES7_SJ_SE_EEvSA_SG_RKT3_T4_EUlidE_EEvlNS_15PhiloxCudaStateESF_SG_,comdat
.Lfunc_end2:
	.size	_ZN2at6native12_GLOBAL__N_143distribution_elementwise_grid_stride_kernelIdLi2EZNS0_9templates4cuda21uniform_and_transformIddPNS_17CUDAGeneratorImplEZZZNS4_13cauchy_kernelIS7_EEvRNS_18TensorIteratorBaseEddT_ENKUlvE_clEvENKUlvE_clEvEUldE_EEvSA_T1_T2_EUlP25hiprandStatePhilox4_32_10E0_ZNS1_27distribution_nullary_kernelIdd15HIP_vector_typeIfLj4EES7_SJ_SE_EEvSA_SG_RKT3_T4_EUlidE_EEvlNS_15PhiloxCudaStateESF_SG_, .Lfunc_end2-_ZN2at6native12_GLOBAL__N_143distribution_elementwise_grid_stride_kernelIdLi2EZNS0_9templates4cuda21uniform_and_transformIddPNS_17CUDAGeneratorImplEZZZNS4_13cauchy_kernelIS7_EEvRNS_18TensorIteratorBaseEddT_ENKUlvE_clEvENKUlvE_clEvEUldE_EEvSA_T1_T2_EUlP25hiprandStatePhilox4_32_10E0_ZNS1_27distribution_nullary_kernelIdd15HIP_vector_typeIfLj4EES7_SJ_SE_EEvSA_SG_RKT3_T4_EUlidE_EEvlNS_15PhiloxCudaStateESF_SG_
                                        ; -- End function
	.section	.AMDGPU.csdata,"",@progbits
; Kernel info:
; codeLenInByte = 5824
; NumSgprs: 63
; NumVgprs: 69
; ScratchSize: 0
; MemoryBound: 0
; FloatMode: 240
; IeeeMode: 1
; LDSByteSize: 0 bytes/workgroup (compile time only)
; SGPRBlocks: 7
; VGPRBlocks: 8
; NumSGPRsForWavesPerEU: 63
; NumVGPRsForWavesPerEU: 69
; Occupancy: 16
; WaveLimiterHint : 0
; COMPUTE_PGM_RSRC2:SCRATCH_EN: 0
; COMPUTE_PGM_RSRC2:USER_SGPR: 15
; COMPUTE_PGM_RSRC2:TRAP_HANDLER: 0
; COMPUTE_PGM_RSRC2:TGID_X_EN: 1
; COMPUTE_PGM_RSRC2:TGID_Y_EN: 0
; COMPUTE_PGM_RSRC2:TGID_Z_EN: 0
; COMPUTE_PGM_RSRC2:TIDIG_COMP_CNT: 0
	.section	.text._ZN2at6native12_GLOBAL__N_143distribution_elementwise_grid_stride_kernelIdLi2EZNS0_9templates4cuda21uniform_and_transformIddPNS_17CUDAGeneratorImplEZZZNS4_13cauchy_kernelIS7_EEvRNS_18TensorIteratorBaseEddT_ENKUlvE_clEvENKUlvE_clEvEUldE_EEvSA_T1_T2_EUlP25hiprandStatePhilox4_32_10E0_ZNS1_27distribution_nullary_kernelIdd15HIP_vector_typeIfLj4EES7_SJ_SE_EEvSA_SG_RKT3_T4_EUlidE0_EEvlNS_15PhiloxCudaStateESF_SG_,"axG",@progbits,_ZN2at6native12_GLOBAL__N_143distribution_elementwise_grid_stride_kernelIdLi2EZNS0_9templates4cuda21uniform_and_transformIddPNS_17CUDAGeneratorImplEZZZNS4_13cauchy_kernelIS7_EEvRNS_18TensorIteratorBaseEddT_ENKUlvE_clEvENKUlvE_clEvEUldE_EEvSA_T1_T2_EUlP25hiprandStatePhilox4_32_10E0_ZNS1_27distribution_nullary_kernelIdd15HIP_vector_typeIfLj4EES7_SJ_SE_EEvSA_SG_RKT3_T4_EUlidE0_EEvlNS_15PhiloxCudaStateESF_SG_,comdat
	.globl	_ZN2at6native12_GLOBAL__N_143distribution_elementwise_grid_stride_kernelIdLi2EZNS0_9templates4cuda21uniform_and_transformIddPNS_17CUDAGeneratorImplEZZZNS4_13cauchy_kernelIS7_EEvRNS_18TensorIteratorBaseEddT_ENKUlvE_clEvENKUlvE_clEvEUldE_EEvSA_T1_T2_EUlP25hiprandStatePhilox4_32_10E0_ZNS1_27distribution_nullary_kernelIdd15HIP_vector_typeIfLj4EES7_SJ_SE_EEvSA_SG_RKT3_T4_EUlidE0_EEvlNS_15PhiloxCudaStateESF_SG_ ; -- Begin function _ZN2at6native12_GLOBAL__N_143distribution_elementwise_grid_stride_kernelIdLi2EZNS0_9templates4cuda21uniform_and_transformIddPNS_17CUDAGeneratorImplEZZZNS4_13cauchy_kernelIS7_EEvRNS_18TensorIteratorBaseEddT_ENKUlvE_clEvENKUlvE_clEvEUldE_EEvSA_T1_T2_EUlP25hiprandStatePhilox4_32_10E0_ZNS1_27distribution_nullary_kernelIdd15HIP_vector_typeIfLj4EES7_SJ_SE_EEvSA_SG_RKT3_T4_EUlidE0_EEvlNS_15PhiloxCudaStateESF_SG_
	.p2align	8
	.type	_ZN2at6native12_GLOBAL__N_143distribution_elementwise_grid_stride_kernelIdLi2EZNS0_9templates4cuda21uniform_and_transformIddPNS_17CUDAGeneratorImplEZZZNS4_13cauchy_kernelIS7_EEvRNS_18TensorIteratorBaseEddT_ENKUlvE_clEvENKUlvE_clEvEUldE_EEvSA_T1_T2_EUlP25hiprandStatePhilox4_32_10E0_ZNS1_27distribution_nullary_kernelIdd15HIP_vector_typeIfLj4EES7_SJ_SE_EEvSA_SG_RKT3_T4_EUlidE0_EEvlNS_15PhiloxCudaStateESF_SG_,@function
_ZN2at6native12_GLOBAL__N_143distribution_elementwise_grid_stride_kernelIdLi2EZNS0_9templates4cuda21uniform_and_transformIddPNS_17CUDAGeneratorImplEZZZNS4_13cauchy_kernelIS7_EEvRNS_18TensorIteratorBaseEddT_ENKUlvE_clEvENKUlvE_clEvEUldE_EEvSA_T1_T2_EUlP25hiprandStatePhilox4_32_10E0_ZNS1_27distribution_nullary_kernelIdd15HIP_vector_typeIfLj4EES7_SJ_SE_EEvSA_SG_RKT3_T4_EUlidE0_EEvlNS_15PhiloxCudaStateESF_SG_: ; @_ZN2at6native12_GLOBAL__N_143distribution_elementwise_grid_stride_kernelIdLi2EZNS0_9templates4cuda21uniform_and_transformIddPNS_17CUDAGeneratorImplEZZZNS4_13cauchy_kernelIS7_EEvRNS_18TensorIteratorBaseEddT_ENKUlvE_clEvENKUlvE_clEvEUldE_EEvSA_T1_T2_EUlP25hiprandStatePhilox4_32_10E0_ZNS1_27distribution_nullary_kernelIdd15HIP_vector_typeIfLj4EES7_SJ_SE_EEvSA_SG_RKT3_T4_EUlidE0_EEvlNS_15PhiloxCudaStateESF_SG_
; %bb.0:
	s_clause 0x2
	s_load_b64 s[4:5], s[0:1], 0x10
	s_load_b128 s[16:19], s[0:1], 0x0
	s_load_b32 s2, s[0:1], 0x20
	s_waitcnt lgkmcnt(0)
	v_dual_mov_b32 v2, s4 :: v_dual_mov_b32 v3, s5
	v_dual_mov_b32 v7, s18 :: v_dual_mov_b32 v8, s19
	s_bitcmp0_b32 s2, 0
	s_mov_b32 s2, 0
	s_cbranch_scc1 .LBB3_2
; %bb.1:
	v_dual_mov_b32 v1, s4 :: v_dual_mov_b32 v2, s5
	v_dual_mov_b32 v4, s18 :: v_dual_mov_b32 v5, s19
	s_load_b64 s[4:5], s[0:1], 0x18
	flat_load_b64 v[2:3], v[1:2]
	flat_load_b64 v[7:8], v[4:5]
	s_waitcnt vmcnt(1) lgkmcnt(0)
	v_add_co_u32 v2, vcc_lo, v2, s4
	v_add_co_ci_u32_e32 v3, vcc_lo, s5, v3, vcc_lo
.LBB3_2:
	s_clause 0x1
	s_load_b32 s3, s[0:1], 0x15c
	s_load_b32 s5, s[0:1], 0x150
	s_waitcnt lgkmcnt(0)
	s_and_b32 s4, s3, 0xffff
	s_add_u32 s6, s16, -1
	s_mul_i32 s33, s5, s4
	s_addc_u32 s3, s17, -1
	s_lshl_b32 s74, s33, 1
	s_cmp_lg_u64 s[2:3], 0
	s_cbranch_scc0 .LBB3_57
; %bb.3:
	v_cvt_f32_ubyte0_e32 v1, 0
	v_cvt_f32_u32_e32 v4, s74
	s_sub_u32 s8, 0, s74
	s_subb_u32 s9, 0, 0
	s_delay_alu instid0(VALU_DEP_1) | instskip(NEXT) | instid1(VALU_DEP_1)
	v_fmamk_f32 v1, v1, 0x4f800000, v4
	v_rcp_f32_e32 v1, v1
	s_waitcnt_depctr 0xfff
	v_mul_f32_e32 v1, 0x5f7ffffc, v1
	s_delay_alu instid0(VALU_DEP_1) | instskip(NEXT) | instid1(VALU_DEP_1)
	v_mul_f32_e32 v4, 0x2f800000, v1
	v_trunc_f32_e32 v4, v4
	s_delay_alu instid0(VALU_DEP_1) | instskip(SKIP_1) | instid1(VALU_DEP_2)
	v_fmamk_f32 v1, v4, 0xcf800000, v1
	v_cvt_u32_f32_e32 v4, v4
	v_cvt_u32_f32_e32 v1, v1
	s_delay_alu instid0(VALU_DEP_2) | instskip(NEXT) | instid1(VALU_DEP_2)
	v_readfirstlane_b32 s2, v4
	v_readfirstlane_b32 s7, v1
	s_delay_alu instid0(VALU_DEP_2) | instskip(NEXT) | instid1(VALU_DEP_1)
	s_mul_i32 s10, s8, s2
	s_mul_hi_u32 s12, s8, s7
	s_mul_i32 s11, s9, s7
	s_add_i32 s10, s12, s10
	s_mul_i32 s13, s8, s7
	s_add_i32 s10, s10, s11
	s_mul_hi_u32 s12, s7, s13
	s_mul_hi_u32 s14, s2, s13
	s_mul_i32 s11, s2, s13
	s_mul_hi_u32 s13, s7, s10
	s_mul_i32 s7, s7, s10
	s_mul_hi_u32 s18, s2, s10
	s_add_u32 s7, s12, s7
	s_addc_u32 s12, 0, s13
	s_add_u32 s7, s7, s11
	s_mul_i32 s10, s2, s10
	s_addc_u32 s7, s12, s14
	s_addc_u32 s11, s18, 0
	s_add_u32 s7, s7, s10
	s_addc_u32 s10, 0, s11
	v_add_co_u32 v1, s7, v1, s7
	s_delay_alu instid0(VALU_DEP_1) | instskip(SKIP_1) | instid1(VALU_DEP_1)
	s_cmp_lg_u32 s7, 0
	s_addc_u32 s2, s2, s10
	v_readfirstlane_b32 s7, v1
	s_mul_i32 s10, s8, s2
	s_delay_alu instid0(VALU_DEP_1)
	s_mul_hi_u32 s11, s8, s7
	s_mul_i32 s9, s9, s7
	s_add_i32 s10, s11, s10
	s_mul_i32 s8, s8, s7
	s_add_i32 s10, s10, s9
	s_mul_hi_u32 s11, s2, s8
	s_mul_i32 s12, s2, s8
	s_mul_hi_u32 s8, s7, s8
	s_mul_hi_u32 s13, s7, s10
	s_mul_i32 s7, s7, s10
	s_mul_hi_u32 s9, s2, s10
	s_add_u32 s7, s8, s7
	s_addc_u32 s8, 0, s13
	s_add_u32 s7, s7, s12
	s_mul_i32 s10, s2, s10
	s_addc_u32 s7, s8, s11
	s_addc_u32 s8, s9, 0
	s_add_u32 s7, s7, s10
	s_addc_u32 s8, 0, s8
	v_add_co_u32 v1, s7, v1, s7
	s_delay_alu instid0(VALU_DEP_1) | instskip(SKIP_2) | instid1(VALU_DEP_1)
	s_cmp_lg_u32 s7, 0
	s_addc_u32 s7, s2, s8
	s_ashr_i32 s8, s3, 31
	v_readfirstlane_b32 s10, v1
	s_add_u32 s2, s6, s8
	s_mov_b32 s9, s8
	s_addc_u32 s3, s3, s8
	s_delay_alu instid0(SALU_CYCLE_1) | instskip(NEXT) | instid1(SALU_CYCLE_1)
	s_xor_b64 s[2:3], s[2:3], s[8:9]
	s_mul_i32 s12, s2, s7
	s_mul_hi_u32 s13, s2, s10
	s_mul_hi_u32 s11, s2, s7
	;; [unrolled: 1-line block ×3, first 2 shown]
	s_mul_i32 s10, s3, s10
	s_add_u32 s12, s13, s12
	s_addc_u32 s11, 0, s11
	s_mul_hi_u32 s14, s3, s7
	s_add_u32 s10, s12, s10
	s_mul_i32 s7, s3, s7
	s_addc_u32 s10, s11, s18
	s_addc_u32 s11, s14, 0
	s_add_u32 s7, s10, s7
	s_addc_u32 s10, 0, s11
	s_mul_i32 s12, s74, s7
	s_add_u32 s11, s7, 1
	v_sub_co_u32 v1, s2, s2, s12
	s_mul_hi_u32 s12, s74, s7
	s_addc_u32 s13, s10, 0
	s_mul_i32 s14, s74, s10
	s_delay_alu instid0(VALU_DEP_1)
	v_sub_co_u32 v4, s18, v1, s74
	s_add_u32 s19, s7, 2
	s_addc_u32 s20, s10, 0
	s_add_i32 s12, s12, s14
	s_cmp_lg_u32 s2, 0
	v_readfirstlane_b32 s2, v4
	s_subb_u32 s3, s3, s12
	s_cmp_lg_u32 s18, 0
	s_subb_u32 s12, s3, 0
	s_delay_alu instid0(VALU_DEP_1) | instskip(SKIP_4) | instid1(SALU_CYCLE_1)
	s_cmp_ge_u32 s2, s74
	s_cselect_b32 s2, -1, 0
	s_cmp_eq_u32 s12, 0
	v_readfirstlane_b32 s12, v1
	s_cselect_b32 s2, s2, -1
	s_cmp_lg_u32 s2, 0
	s_cselect_b32 s2, s19, s11
	s_cselect_b32 s11, s20, s13
	s_cmp_ge_u32 s12, s74
	s_cselect_b32 s12, -1, 0
	s_cmp_eq_u32 s3, 0
	s_cselect_b32 s3, s12, -1
	s_delay_alu instid0(SALU_CYCLE_1) | instskip(SKIP_2) | instid1(SALU_CYCLE_1)
	s_cmp_lg_u32 s3, 0
	s_cselect_b32 s3, s11, s10
	s_cselect_b32 s2, s2, s7
	s_xor_b64 s[2:3], s[2:3], s[8:9]
	s_delay_alu instid0(SALU_CYCLE_1)
	s_sub_u32 s2, s2, s8
	s_subb_u32 s3, s3, s8
	s_cbranch_execnz .LBB3_5
.LBB3_4:
	v_cvt_f32_u32_e32 v1, s74
	s_sub_i32 s3, 0, s74
	s_delay_alu instid0(VALU_DEP_1) | instskip(SKIP_2) | instid1(VALU_DEP_1)
	v_rcp_iflag_f32_e32 v1, v1
	s_waitcnt_depctr 0xfff
	v_mul_f32_e32 v1, 0x4f7ffffe, v1
	v_cvt_u32_f32_e32 v1, v1
	s_delay_alu instid0(VALU_DEP_1) | instskip(NEXT) | instid1(VALU_DEP_1)
	v_readfirstlane_b32 s2, v1
	s_mul_i32 s3, s3, s2
	s_delay_alu instid0(SALU_CYCLE_1) | instskip(NEXT) | instid1(SALU_CYCLE_1)
	s_mul_hi_u32 s3, s2, s3
	s_add_i32 s2, s2, s3
	s_delay_alu instid0(SALU_CYCLE_1) | instskip(NEXT) | instid1(SALU_CYCLE_1)
	s_mul_hi_u32 s2, s6, s2
	s_mul_i32 s3, s2, s74
	s_delay_alu instid0(SALU_CYCLE_1)
	s_sub_i32 s3, s6, s3
	s_add_i32 s6, s2, 1
	s_sub_i32 s7, s3, s74
	s_cmp_ge_u32 s3, s74
	s_cselect_b32 s2, s6, s2
	s_cselect_b32 s3, s7, s3
	s_add_i32 s6, s2, 1
	s_cmp_ge_u32 s3, s74
	s_mov_b32 s3, 0
	s_cselect_b32 s2, s6, s2
.LBB3_5:
	v_mov_b32_e32 v9, 0
	s_add_u32 s2, s2, 1
	s_addc_u32 s3, s3, 0
	s_mul_hi_u32 s5, s5, s4
	s_mul_hi_u32 s6, s33, s2
	v_mov_b32_e32 v1, v9
	s_mul_i32 s3, s33, s3
	s_mul_i32 s5, s5, s2
	s_add_i32 s3, s6, s3
	s_mul_i32 s2, s33, s2
	v_mad_u64_u32 v[11:12], null, s4, s15, v[0:1]
	s_add_i32 s3, s3, s5
	s_mov_b32 s4, exec_lo
	s_lshl_b64 s[2:3], s[2:3], 1
	s_delay_alu instid0(VALU_DEP_1) | instid1(SALU_CYCLE_1)
	v_cmpx_gt_i64_e64 s[2:3], v[11:12]
	s_cbranch_execz .LBB3_56
; %bb.6:
	v_alignbit_b32 v20, v3, v2, 2
	v_mad_u64_u32 v[4:5], null, 0xcd9e8d57, v11, 0
	v_lshrrev_b32_e32 v21, 2, v3
	s_waitcnt vmcnt(0)
	v_dual_mov_b32 v10, v8 :: v_dual_add_nc_u32 v25, 0x8ff34781, v7
	v_mad_u64_u32 v[0:1], null, 0xd2511f53, v20, 0
	v_dual_mov_b32 v41, v11 :: v_dual_and_b32 v22, 3, v2
	v_xor3_b32 v3, v7, v5, v21
	s_delay_alu instid0(VALU_DEP_4) | instskip(SKIP_4) | instid1(VALU_DEP_3)
	v_add_co_u32 v23, null, 0xbb67ae85, v10
	v_add_co_u32 v24, null, 0x9e3779b9, v7
	v_xor_b32_e32 v1, v1, v8
	v_add_co_u32 v27, null, 0x3c6ef372, v7
	v_add_co_u32 v28, null, 0x76cf5d0a, v10
	v_xor_b32_e32 v13, v1, v12
	v_mad_u64_u32 v[1:2], null, 0xd2511f53, v3, 0
	v_add_co_u32 v31, null, 0xdaa66d2b, v7
	s_delay_alu instid0(VALU_DEP_3) | instskip(SKIP_1) | instid1(VALU_DEP_4)
	v_mad_u64_u32 v[5:6], null, 0xcd9e8d57, v13, 0
	v_add_co_u32 v32, null, 0x32370b8f, v10
	v_xor3_b32 v0, v23, v2, v0
	v_add_co_u32 v33, null, 0x78dde6e4, v7
	v_add_co_u32 v36, null, 0xed9eba14, v10
	v_xor3_b32 v4, v24, v6, v4
	s_delay_alu instid0(VALU_DEP_4) | instskip(SKIP_1) | instid1(VALU_DEP_3)
	v_mad_u64_u32 v[2:3], null, 0xcd9e8d57, v0, 0
	v_add_co_u32 v30, null, 0x1715609d, v7
	v_mad_u64_u32 v[13:14], null, 0xd2511f53, v4, 0
	v_add_co_u32 v37, null, 0xa9066899, v10
	s_delay_alu instid0(VALU_DEP_4) | instskip(SKIP_3) | instid1(VALU_DEP_4)
	v_xor3_b32 v3, v27, v3, v5
	v_add_co_u32 v34, null, 0xb54cda56, v7
	v_add_co_u32 v38, null, 0x646e171e, v10
	v_xor3_b32 v5, v28, v14, v1
	v_mad_u64_u32 v[0:1], null, 0xd2511f53, v3, 0
	s_load_b256 s[4:11], s[0:1], 0x30
	v_add_co_u32 v29, null, 0x5384540f, v7
	s_delay_alu instid0(VALU_DEP_3) | instskip(SKIP_1) | instid1(VALU_DEP_4)
	v_mad_u64_u32 v[3:4], null, 0xcd9e8d57, v5, 0
	v_add_co_u32 v39, null, 0x1fd5c5a3, v10
	v_xor3_b32 v5, v32, v1, v13
	v_add_co_u32 v35, null, 0xf1bbcdc8, v7
	v_add_co_u32 v40, null, 0xdb3d7428, v10
	v_xor3_b32 v6, v31, v4, v2
	s_delay_alu instid0(VALU_DEP_4)
	v_mad_u64_u32 v[1:2], null, 0xcd9e8d57, v5, 0
	s_add_u32 s18, s0, 48
	s_clause 0x2
	s_load_b64 s[20:21], s[0:1], 0x148
	s_load_b64 s[22:23], s[0:1], 0xf4
	s_load_b128 s[12:15], s[0:1], 0x138
	v_mad_u64_u32 v[4:5], null, 0xd2511f53, v6, 0
	s_addc_u32 s19, s1, 0
	s_waitcnt lgkmcnt(0)
	s_add_i32 s26, s4, -1
	v_xor3_b32 v6, v33, v2, v3
	s_cmp_gt_u32 s26, 1
	v_add_nc_u32_e32 v26, 0x96a522ad, v8
	s_cselect_b32 s11, -1, 0
	v_xor3_b32 v0, v36, v5, v0
	v_mad_u64_u32 v[2:3], null, 0xd2511f53, v6, 0
	s_cmp_lg_u32 s4, 0
	v_mov_b32_e32 v42, v12
	s_delay_alu instid0(VALU_DEP_3) | instskip(SKIP_2) | instid1(VALU_DEP_3)
	v_mad_u64_u32 v[5:6], null, 0xcd9e8d57, v0, 0
	s_cselect_b32 s76, -1, 0
	s_add_u32 s36, s0, 0xf4
	v_xor3_b32 v3, v37, v3, v4
	s_addc_u32 s37, s1, 0
	s_min_u32 s0, s26, 15
	s_cmp_gt_u32 s4, 1
	s_delay_alu instid0(VALU_DEP_2) | instskip(SKIP_3) | instid1(VALU_DEP_2)
	v_xor3_b32 v6, v30, v6, v1
	v_mad_u64_u32 v[0:1], null, 0xcd9e8d57, v3, 0
	s_cselect_b32 s4, -1, 0
	s_add_i32 s0, s0, 1
	v_mad_u64_u32 v[3:4], null, 0xd2511f53, v6, 0
	s_and_b32 s77, s0, 3
	s_cmp_lg_u32 s26, 2
	s_delay_alu instid0(VALU_DEP_2) | instskip(SKIP_3) | instid1(VALU_DEP_2)
	v_xor3_b32 v5, v34, v1, v5
	s_cselect_b32 s78, -1, 0
	s_and_b32 s79, s0, 28
	s_cmp_lg_u32 s77, 0
	v_xor3_b32 v6, v38, v4, v2
	v_mad_u64_u32 v[1:2], null, 0xd2511f53, v5, 0
	s_mov_b32 s24, 0x54442d18
	s_mov_b32 s28, 0x6dc9c883
	s_delay_alu instid0(VALU_DEP_2) | instskip(SKIP_2) | instid1(VALU_DEP_2)
	v_mad_u64_u32 v[4:5], null, 0xcd9e8d57, v6, 0
	s_mov_b32 s30, 0x33145c00
	s_mov_b32 s34, 0x252049c0
	v_xor3_b32 v6, v39, v2, v3
	s_mov_b32 s38, 0xa9a29f71
	s_mov_b32 s40, 0xc751c08c
	;; [unrolled: 1-line block ×3, first 2 shown]
	s_delay_alu instid0(VALU_DEP_2) | instskip(SKIP_3) | instid1(VALU_DEP_2)
	v_xor3_b32 v0, v29, v5, v0
	v_mad_u64_u32 v[2:3], null, 0xcd9e8d57, v6, 0
	s_mov_b32 s44, 0xa6fbf144
	s_mov_b32 s46, 0xa7943acf
	v_mad_u64_u32 v[13:14], null, 0xd2511f53, v0, 0
	s_mov_b32 s48, 0xdeb68feb
	s_mov_b32 s50, 0xb58c4d95
	s_delay_alu instid0(VALU_DEP_2) | instskip(SKIP_3) | instid1(VALU_DEP_2)
	v_xor3_b32 v3, v35, v3, v4
	s_mov_b32 s52, 0x15120e2c
	s_mov_b32 s54, 0xe09491df
	s_mov_b32 s56, 0x2033784d
	v_xor3_b32 v6, v40, v14, v1
	v_mad_u64_u32 v[0:1], null, 0xd2511f53, v3, 0
	s_mov_b32 s58, 0x9ac36ae2
	s_mov_b32 s60, 0x1b451c21
	s_delay_alu instid0(VALU_DEP_2) | instskip(SKIP_2) | instid1(VALU_DEP_2)
	v_mad_u64_u32 v[4:5], null, 0xcd9e8d57, v6, 0
	s_mov_b32 s62, 0x111185b7
	s_mov_b32 s64, 0x555554ee
	v_mov_b32_e32 v6, v0
	s_mov_b32 s75, 0
	s_mov_b32 s25, 0x400921fb
	;; [unrolled: 1-line block ×3, first 2 shown]
	s_delay_alu instid0(VALU_DEP_2)
	v_xor3_b32 v3, v5, v2, v25
	v_xor3_b32 v5, v1, v13, v26
	s_mov_b32 s29, 0x3fe45f30
	s_mov_b32 s31, 0xbc91a626
	;; [unrolled: 1-line block ×4, first 2 shown]
	s_cselect_b32 s80, -1, 0
	s_mov_b32 s41, 0x3ef5e089
	s_mov_b32 s43, 0x3f17746f
	;; [unrolled: 1-line block ×16, first 2 shown]
	s_branch .LBB3_9
.LBB3_7:                                ;   in Loop: Header=BB3_9 Depth=1
	s_or_b32 exec_lo, exec_lo, s26
	v_mul_f64 v[18:19], v[14:15], v[14:15]
	s_delay_alu instid0(VALU_DEP_2) | instskip(SKIP_3) | instid1(VALU_DEP_2)
	v_add_f64 v[43:44], v[16:17], v[16:17]
	v_cmp_class_f64_e64 s0, v[4:5], 0x1f8
	v_and_b32_e32 v6, 1, v6
	v_and_b32_e32 v5, 0x80000000, v5
	v_cmp_eq_u32_e32 vcc_lo, 0, v6
	v_fma_f64 v[45:46], v[14:15], v[14:15], -v[18:19]
	s_delay_alu instid0(VALU_DEP_1) | instskip(NEXT) | instid1(VALU_DEP_1)
	v_fma_f64 v[43:44], v[14:15], v[43:44], v[45:46]
	v_add_f64 v[18:19], v[18:19], v[43:44]
	s_delay_alu instid0(VALU_DEP_1) | instskip(NEXT) | instid1(VALU_DEP_1)
	v_fma_f64 v[43:44], v[18:19], s[40:41], s[38:39]
	v_fma_f64 v[43:44], v[18:19], v[43:44], s[42:43]
	s_delay_alu instid0(VALU_DEP_1) | instskip(NEXT) | instid1(VALU_DEP_1)
	v_fma_f64 v[43:44], v[18:19], v[43:44], s[44:45]
	v_fma_f64 v[43:44], v[18:19], v[43:44], s[46:47]
	;; [unrolled: 3-line block ×6, first 2 shown]
	s_delay_alu instid0(VALU_DEP_1) | instskip(NEXT) | instid1(VALU_DEP_1)
	v_fma_f64 v[43:44], v[18:19], v[43:44], s[64:65]
	v_mul_f64 v[18:19], v[18:19], v[43:44]
	s_delay_alu instid0(VALU_DEP_1) | instskip(NEXT) | instid1(VALU_DEP_1)
	v_mul_f64 v[43:44], v[14:15], v[18:19]
	v_add_f64 v[45:46], v[14:15], v[43:44]
	v_fma_f64 v[18:19], v[14:15], v[18:19], -v[43:44]
	s_delay_alu instid0(VALU_DEP_2) | instskip(NEXT) | instid1(VALU_DEP_2)
	v_add_f64 v[14:15], v[45:46], -v[14:15]
	v_add_f64 v[16:17], v[16:17], v[18:19]
	s_delay_alu instid0(VALU_DEP_2) | instskip(NEXT) | instid1(VALU_DEP_1)
	v_add_f64 v[14:15], v[43:44], -v[14:15]
	v_add_f64 v[14:15], v[16:17], v[14:15]
	s_delay_alu instid0(VALU_DEP_1) | instskip(NEXT) | instid1(VALU_DEP_1)
	v_add_f64 v[16:17], v[45:46], v[14:15]
	v_rcp_f64_e32 v[18:19], v[16:17]
	s_waitcnt_depctr 0xfff
	v_fma_f64 v[43:44], -v[16:17], v[18:19], 1.0
	s_delay_alu instid0(VALU_DEP_1) | instskip(NEXT) | instid1(VALU_DEP_1)
	v_fma_f64 v[18:19], v[43:44], v[18:19], v[18:19]
	v_fma_f64 v[43:44], -v[16:17], v[18:19], 1.0
	s_delay_alu instid0(VALU_DEP_1) | instskip(SKIP_1) | instid1(VALU_DEP_2)
	v_fma_f64 v[18:19], v[43:44], v[18:19], v[18:19]
	v_add_f64 v[43:44], v[16:17], -v[45:46]
	v_mul_f64 v[45:46], v[16:17], v[18:19]
	s_delay_alu instid0(VALU_DEP_2) | instskip(NEXT) | instid1(VALU_DEP_2)
	v_add_f64 v[14:15], v[14:15], -v[43:44]
	v_fma_f64 v[43:44], v[18:19], v[16:17], -v[45:46]
	s_delay_alu instid0(VALU_DEP_1) | instskip(NEXT) | instid1(VALU_DEP_1)
	v_fma_f64 v[14:15], v[18:19], v[14:15], v[43:44]
	v_add_f64 v[43:44], v[45:46], v[14:15]
	s_delay_alu instid0(VALU_DEP_1) | instskip(SKIP_1) | instid1(VALU_DEP_2)
	v_add_f64 v[47:48], -v[43:44], 1.0
	v_add_f64 v[45:46], v[43:44], -v[45:46]
	v_add_f64 v[49:50], -v[47:48], 1.0
	s_delay_alu instid0(VALU_DEP_2) | instskip(NEXT) | instid1(VALU_DEP_2)
	v_add_f64 v[14:15], v[45:46], -v[14:15]
	v_add_f64 v[43:44], v[49:50], -v[43:44]
	s_delay_alu instid0(VALU_DEP_1) | instskip(NEXT) | instid1(VALU_DEP_1)
	v_add_f64 v[14:15], v[14:15], v[43:44]
	v_add_f64 v[14:15], v[47:48], v[14:15]
	s_delay_alu instid0(VALU_DEP_1) | instskip(NEXT) | instid1(VALU_DEP_1)
	v_mul_f64 v[14:15], v[18:19], v[14:15]
	v_add_f64 v[14:15], v[18:19], v[14:15]
	s_delay_alu instid0(VALU_DEP_1) | instskip(NEXT) | instid1(VALU_DEP_2)
	v_xor_b32_e32 v4, 0x80000000, v15
	v_cndmask_b32_e32 v6, v14, v16, vcc_lo
	s_delay_alu instid0(VALU_DEP_2) | instskip(NEXT) | instid1(VALU_DEP_1)
	v_cndmask_b32_e32 v4, v4, v17, vcc_lo
	v_xor_b32_e32 v5, v4, v5
	s_delay_alu instid0(VALU_DEP_3) | instskip(NEXT) | instid1(VALU_DEP_2)
	v_cndmask_b32_e64 v4, 0, v6, s0
	v_cndmask_b32_e64 v5, 0x7ff80000, v5, s0
	s_delay_alu instid0(VALU_DEP_1)
	v_fma_f64 v[4:5], s[20:21], v[4:5], s[14:15]
	global_store_b64 v3, v[4:5], s[12:13]
.LBB3_8:                                ;   in Loop: Header=BB3_9 Depth=1
	s_or_b32 exec_lo, exec_lo, s81
	v_add_co_u32 v11, vcc_lo, v11, s74
	v_add_co_ci_u32_e32 v12, vcc_lo, 0, v12, vcc_lo
	v_mov_b32_e32 v3, v13
	s_waitcnt_vscnt null, 0x0
	s_barrier
	s_delay_alu instid0(VALU_DEP_2)
	v_cmp_le_i64_e32 vcc_lo, s[2:3], v[11:12]
	buffer_gl0_inv
	v_mov_b32_e32 v6, v3
	v_dual_mov_b32 v5, v2 :: v_dual_mov_b32 v4, v1
	v_mov_b32_e32 v3, v0
	s_or_b32 s75, vcc_lo, s75
	s_delay_alu instid0(SALU_CYCLE_1)
	s_and_not1_b32 exec_lo, exec_lo, s75
	s_cbranch_execz .LBB3_56
.LBB3_9:                                ; =>This Loop Header: Depth=1
                                        ;     Child Loop BB3_24 Depth 2
                                        ;     Child Loop BB3_29 Depth 2
	;; [unrolled: 1-line block ×4, first 2 shown]
	v_add_co_u32 v20, vcc_lo, v20, 1
	s_delay_alu instid0(VALU_DEP_1) | instskip(SKIP_2) | instid1(VALU_DEP_1)
	v_cndmask_b32_e64 v0, 0, 1, vcc_lo
	v_add_co_ci_u32_e32 v21, vcc_lo, 0, v21, vcc_lo
	s_mov_b32 s0, exec_lo
	v_cmp_eq_u32_e32 vcc_lo, 0, v21
	s_delay_alu instid0(VALU_DEP_3) | instskip(NEXT) | instid1(VALU_DEP_1)
	v_cndmask_b32_e32 v0, 0, v0, vcc_lo
	v_add_nc_u32_e32 v41, v0, v41
	s_delay_alu instid0(VALU_DEP_1) | instskip(SKIP_2) | instid1(VALU_DEP_2)
	v_cmp_eq_u32_e32 vcc_lo, 0, v41
	v_cndmask_b32_e32 v0, 0, v0, vcc_lo
	v_mad_u64_u32 v[13:14], null, 0xcd9e8d57, v41, 0
	v_add_nc_u32_e32 v42, v0, v42
	v_mad_u64_u32 v[0:1], null, 0xd2511f53, v20, 0
	s_delay_alu instid0(VALU_DEP_3) | instskip(NEXT) | instid1(VALU_DEP_2)
	v_xor3_b32 v16, v14, v7, v21
	v_xor_b32_e32 v1, v1, v8
	s_delay_alu instid0(VALU_DEP_2) | instskip(NEXT) | instid1(VALU_DEP_2)
	v_mad_u64_u32 v[14:15], null, 0xd2511f53, v16, 0
	v_xor_b32_e32 v10, v42, v1
	s_delay_alu instid0(VALU_DEP_2) | instskip(NEXT) | instid1(VALU_DEP_2)
	v_xor3_b32 v0, v23, v15, v0
	v_mad_u64_u32 v[1:2], null, 0xcd9e8d57, v10, 0
	s_delay_alu instid0(VALU_DEP_2) | instskip(NEXT) | instid1(VALU_DEP_2)
	v_mad_u64_u32 v[17:18], null, 0xcd9e8d57, v0, 0
	v_xor3_b32 v2, v24, v2, v13
	s_delay_alu instid0(VALU_DEP_2) | instskip(NEXT) | instid1(VALU_DEP_2)
	v_xor3_b32 v10, v27, v18, v1
	v_mad_u64_u32 v[15:16], null, 0xd2511f53, v2, 0
	s_delay_alu instid0(VALU_DEP_1) | instskip(NEXT) | instid1(VALU_DEP_3)
	v_xor3_b32 v2, v28, v16, v14
	v_mad_u64_u32 v[13:14], null, 0xd2511f53, v10, 0
	s_delay_alu instid0(VALU_DEP_2) | instskip(NEXT) | instid1(VALU_DEP_2)
	v_mad_u64_u32 v[0:1], null, 0xcd9e8d57, v2, 0
	v_xor3_b32 v16, v32, v14, v15
	s_delay_alu instid0(VALU_DEP_2) | instskip(NEXT) | instid1(VALU_DEP_2)
	v_xor3_b32 v10, v31, v1, v17
	v_mad_u64_u32 v[14:15], null, 0xcd9e8d57, v16, 0
	s_delay_alu instid0(VALU_DEP_2) | instskip(NEXT) | instid1(VALU_DEP_2)
	v_mad_u64_u32 v[1:2], null, 0xd2511f53, v10, 0
	v_xor3_b32 v0, v33, v15, v0
	s_delay_alu instid0(VALU_DEP_2) | instskip(NEXT) | instid1(VALU_DEP_2)
	;; [unrolled: 6-line block ×6, first 2 shown]
	v_xor3_b32 v0, v40, v16, v14
	v_mad_u64_u32 v[13:14], null, 0xd2511f53, v10, 0
	s_delay_alu instid0(VALU_DEP_2) | instskip(NEXT) | instid1(VALU_DEP_1)
	v_mad_u64_u32 v[1:2], null, 0xcd9e8d57, v0, 0
	v_xor3_b32 v0, v2, v17, v25
	s_delay_alu instid0(VALU_DEP_3)
	v_xor3_b32 v2, v14, v15, v26
	v_cmpx_lt_i32_e32 1, v22
	s_xor_b32 s0, exec_lo, s0
	s_cbranch_execnz .LBB3_12
; %bb.10:                               ;   in Loop: Header=BB3_9 Depth=1
	s_and_not1_saveexec_b32 s0, s0
	s_cbranch_execnz .LBB3_17
.LBB3_11:                               ;   in Loop: Header=BB3_9 Depth=1
	s_or_b32 exec_lo, exec_lo, s0
	s_delay_alu instid0(SALU_CYCLE_1)
	s_mov_b32 s81, exec_lo
	v_cmpx_gt_i64_e64 s[16:17], v[11:12]
	s_cbranch_execnz .LBB3_20
	s_branch .LBB3_38
.LBB3_12:                               ;   in Loop: Header=BB3_9 Depth=1
	s_mov_b32 s26, exec_lo
	v_cmpx_lt_i32_e32 2, v22
	s_xor_b32 s26, exec_lo, s26
; %bb.13:                               ;   in Loop: Header=BB3_9 Depth=1
	v_dual_mov_b32 v3, v6 :: v_dual_mov_b32 v4, v0
; %bb.14:                               ;   in Loop: Header=BB3_9 Depth=1
	s_and_not1_saveexec_b32 s26, s26
; %bb.15:                               ;   in Loop: Header=BB3_9 Depth=1
	v_dual_mov_b32 v3, v5 :: v_dual_mov_b32 v4, v6
; %bb.16:                               ;   in Loop: Header=BB3_9 Depth=1
	s_or_b32 exec_lo, exec_lo, s26
	s_and_not1_saveexec_b32 s0, s0
	s_cbranch_execz .LBB3_11
.LBB3_17:                               ;   in Loop: Header=BB3_9 Depth=1
	s_mov_b32 s26, exec_lo
	v_cmpx_eq_u32_e32 1, v22
; %bb.18:                               ;   in Loop: Header=BB3_9 Depth=1
	v_dual_mov_b32 v3, v4 :: v_dual_mov_b32 v4, v5
; %bb.19:                               ;   in Loop: Header=BB3_9 Depth=1
	s_or_b32 exec_lo, exec_lo, s26
	s_delay_alu instid0(SALU_CYCLE_1) | instskip(NEXT) | instid1(SALU_CYCLE_1)
	s_or_b32 exec_lo, exec_lo, s0
	s_mov_b32 s81, exec_lo
	v_cmpx_gt_i64_e64 s[16:17], v[11:12]
	s_cbranch_execz .LBB3_38
.LBB3_20:                               ;   in Loop: Header=BB3_9 Depth=1
	s_and_not1_b32 vcc_lo, exec_lo, s11
	s_cbranch_vccnz .LBB3_26
; %bb.21:                               ;   in Loop: Header=BB3_9 Depth=1
	v_mov_b32_e32 v5, 0
	s_and_not1_b32 vcc_lo, exec_lo, s76
	s_cbranch_vccnz .LBB3_30
; %bb.22:                               ;   in Loop: Header=BB3_9 Depth=1
	s_and_not1_b32 vcc_lo, exec_lo, s78
	s_mov_b32 s0, 0
	s_cbranch_vccnz .LBB3_27
; %bb.23:                               ;   in Loop: Header=BB3_9 Depth=1
	v_dual_mov_b32 v5, 0 :: v_dual_mov_b32 v6, v11
	s_mov_b64 s[70:71], s[18:19]
	s_mov_b64 s[72:73], s[36:37]
.LBB3_24:                               ;   Parent Loop BB3_9 Depth=1
                                        ; =>  This Inner Loop Header: Depth=2
	s_clause 0x1
	s_load_b256 s[84:91], s[70:71], 0x4
	s_load_b128 s[92:95], s[70:71], 0x24
	s_load_b128 s[96:99], s[72:73], 0x0
	s_add_u32 s70, s70, 48
	s_addc_u32 s71, s71, 0
	s_add_i32 s0, s0, 4
	s_add_u32 s72, s72, 16
	s_addc_u32 s73, s73, 0
	s_cmp_lg_u32 s79, s0
	s_waitcnt lgkmcnt(0)
	v_mul_hi_u32 v10, s85, v6
	s_delay_alu instid0(VALU_DEP_1) | instskip(NEXT) | instid1(VALU_DEP_1)
	v_add_nc_u32_e32 v10, v6, v10
	v_lshrrev_b32_e32 v10, s86, v10
	s_delay_alu instid0(VALU_DEP_1) | instskip(SKIP_1) | instid1(VALU_DEP_2)
	v_mul_hi_u32 v14, s88, v10
	v_mul_lo_u32 v17, v10, s84
	v_add_nc_u32_e32 v14, v10, v14
	s_delay_alu instid0(VALU_DEP_2) | instskip(NEXT) | instid1(VALU_DEP_2)
	v_sub_nc_u32_e32 v17, v6, v17
	v_lshrrev_b32_e32 v14, s89, v14
	s_delay_alu instid0(VALU_DEP_2) | instskip(NEXT) | instid1(VALU_DEP_2)
	v_mul_lo_u32 v17, v17, s96
	v_mul_hi_u32 v15, s91, v14
	v_mul_lo_u32 v18, v14, s87
	s_delay_alu instid0(VALU_DEP_2) | instskip(NEXT) | instid1(VALU_DEP_2)
	v_add_nc_u32_e32 v15, v14, v15
	v_sub_nc_u32_e32 v10, v10, v18
	s_delay_alu instid0(VALU_DEP_2) | instskip(NEXT) | instid1(VALU_DEP_2)
	v_lshrrev_b32_e32 v15, s92, v15
	v_mul_lo_u32 v10, v10, s97
	s_delay_alu instid0(VALU_DEP_2) | instskip(NEXT) | instid1(VALU_DEP_2)
	v_mul_hi_u32 v16, s94, v15
	v_add3_u32 v5, v17, v5, v10
	s_delay_alu instid0(VALU_DEP_2) | instskip(NEXT) | instid1(VALU_DEP_1)
	v_add_nc_u32_e32 v16, v15, v16
	v_lshrrev_b32_e32 v6, s95, v16
	v_mul_lo_u32 v16, v15, s90
	s_delay_alu instid0(VALU_DEP_2) | instskip(NEXT) | instid1(VALU_DEP_2)
	v_mul_lo_u32 v19, v6, s93
	v_sub_nc_u32_e32 v14, v14, v16
	s_delay_alu instid0(VALU_DEP_2) | instskip(NEXT) | instid1(VALU_DEP_2)
	v_sub_nc_u32_e32 v15, v15, v19
	v_mul_lo_u32 v14, v14, s98
	s_delay_alu instid0(VALU_DEP_2) | instskip(NEXT) | instid1(VALU_DEP_1)
	v_mul_lo_u32 v15, v15, s99
	v_add3_u32 v5, v14, v5, v15
	s_cbranch_scc1 .LBB3_24
; %bb.25:                               ;   in Loop: Header=BB3_9 Depth=1
	s_mov_b32 s0, s79
	s_and_not1_b32 vcc_lo, exec_lo, s80
	s_cbranch_vccz .LBB3_28
	s_branch .LBB3_30
.LBB3_26:                               ;   in Loop: Header=BB3_9 Depth=1
                                        ; implicit-def: $vgpr5
	s_branch .LBB3_31
.LBB3_27:                               ;   in Loop: Header=BB3_9 Depth=1
	v_mov_b32_e32 v6, v11
	s_and_not1_b32 vcc_lo, exec_lo, s80
	s_cbranch_vccnz .LBB3_30
.LBB3_28:                               ;   in Loop: Header=BB3_9 Depth=1
	s_lshl_b32 s26, s0, 2
	s_mul_i32 s0, s0, 12
	s_add_u32 s70, s36, s26
	s_addc_u32 s71, s37, 0
	s_add_u32 s72, s18, s0
	s_addc_u32 s73, s19, 0
	s_mov_b32 s0, s77
	.p2align	6
.LBB3_29:                               ;   Parent Loop BB3_9 Depth=1
                                        ; =>  This Inner Loop Header: Depth=2
	s_clause 0x1
	s_load_b64 s[82:83], s[72:73], 0x4
	s_load_b32 s26, s[72:73], 0xc
	s_load_b32 s67, s[70:71], 0x0
	s_add_u32 s72, s72, 12
	s_addc_u32 s73, s73, 0
	s_add_u32 s70, s70, 4
	s_addc_u32 s71, s71, 0
	s_add_i32 s0, s0, -1
	s_delay_alu instid0(SALU_CYCLE_1) | instskip(SKIP_2) | instid1(VALU_DEP_1)
	s_cmp_lg_u32 s0, 0
	s_waitcnt lgkmcnt(0)
	v_mul_hi_u32 v10, s83, v6
	v_add_nc_u32_e32 v10, v6, v10
	s_delay_alu instid0(VALU_DEP_1) | instskip(NEXT) | instid1(VALU_DEP_1)
	v_lshrrev_b32_e32 v10, s26, v10
	v_mul_lo_u32 v14, v10, s82
	s_delay_alu instid0(VALU_DEP_1) | instskip(NEXT) | instid1(VALU_DEP_1)
	v_sub_nc_u32_e32 v6, v6, v14
	v_mad_u64_u32 v[14:15], null, v6, s67, v[5:6]
	v_mov_b32_e32 v6, v10
	s_delay_alu instid0(VALU_DEP_2)
	v_mov_b32_e32 v5, v14
	s_cbranch_scc1 .LBB3_29
.LBB3_30:                               ;   in Loop: Header=BB3_9 Depth=1
	s_cbranch_execnz .LBB3_33
.LBB3_31:                               ;   in Loop: Header=BB3_9 Depth=1
	v_mul_hi_u32 v5, v11, s6
	s_and_not1_b32 vcc_lo, exec_lo, s4
	s_delay_alu instid0(VALU_DEP_1) | instskip(NEXT) | instid1(VALU_DEP_1)
	v_add_nc_u32_e32 v5, v5, v11
	v_lshrrev_b32_e32 v6, s7, v5
	s_delay_alu instid0(VALU_DEP_1) | instskip(NEXT) | instid1(VALU_DEP_1)
	v_mul_lo_u32 v5, v6, s5
	v_sub_nc_u32_e32 v5, v11, v5
	s_delay_alu instid0(VALU_DEP_1)
	v_mul_lo_u32 v5, v5, s22
	s_cbranch_vccnz .LBB3_33
; %bb.32:                               ;   in Loop: Header=BB3_9 Depth=1
	v_mul_hi_u32 v10, s9, v6
	s_delay_alu instid0(VALU_DEP_1) | instskip(NEXT) | instid1(VALU_DEP_1)
	v_add_nc_u32_e32 v10, v6, v10
	v_lshrrev_b32_e32 v10, s10, v10
	s_delay_alu instid0(VALU_DEP_1) | instskip(NEXT) | instid1(VALU_DEP_1)
	v_mul_lo_u32 v10, v10, s8
	v_sub_nc_u32_e32 v6, v6, v10
	s_delay_alu instid0(VALU_DEP_1) | instskip(NEXT) | instid1(VALU_DEP_1)
	v_mad_u64_u32 v[14:15], null, v6, s23, v[5:6]
	v_mov_b32_e32 v5, v14
.LBB3_33:                               ;   in Loop: Header=BB3_9 Depth=1
	v_cvt_f32_u32_e32 v3, v3
                                        ; implicit-def: $vgpr16_vgpr17
                                        ; implicit-def: $vgpr18_vgpr19
	s_mov_b32 s26, exec_lo
	s_delay_alu instid0(VALU_DEP_1) | instskip(NEXT) | instid1(VALU_DEP_1)
	v_fmaak_f32 v3, 0x2f800000, v3, 0x2f800000
	v_cvt_f64_f32_e32 v[14:15], v3
                                        ; implicit-def: $vgpr3
	s_delay_alu instid0(VALU_DEP_1) | instskip(NEXT) | instid1(VALU_DEP_1)
	v_add_f64 v[14:15], v[14:15], -0.5
	v_mul_f64 v[14:15], v[14:15], s[24:25]
	s_delay_alu instid0(VALU_DEP_1)
	v_cmpx_ngt_f64_e64 0x41d00000, |v[14:15]|
	s_xor_b32 s68, exec_lo, s26
	s_cbranch_execz .LBB3_35
; %bb.34:                               ;   in Loop: Header=BB3_9 Depth=1
	v_ldexp_f64 v[16:17], |v[14:15]|, 0xffffff80
	v_cmp_le_f64_e64 vcc_lo, 0x7b000000, |v[14:15]|
	v_trig_preop_f64 v[18:19], |v[14:15]|, 0
	v_and_b32_e32 v3, 0x7fffffff, v15
	v_trig_preop_f64 v[43:44], |v[14:15]|, 1
	v_trig_preop_f64 v[53:54], |v[14:15]|, 2
	s_mov_b32 s26, s24
	s_mov_b32 s67, s1
	v_dual_cndmask_b32 v16, v14, v16 :: v_dual_cndmask_b32 v17, v3, v17
	s_delay_alu instid0(VALU_DEP_1) | instskip(NEXT) | instid1(VALU_DEP_4)
	v_mul_f64 v[45:46], v[18:19], v[16:17]
	v_mul_f64 v[47:48], v[43:44], v[16:17]
	s_delay_alu instid0(VALU_DEP_2) | instskip(NEXT) | instid1(VALU_DEP_2)
	v_fma_f64 v[18:19], v[18:19], v[16:17], -v[45:46]
	v_fma_f64 v[43:44], v[43:44], v[16:17], -v[47:48]
	s_delay_alu instid0(VALU_DEP_2) | instskip(NEXT) | instid1(VALU_DEP_1)
	v_add_f64 v[49:50], v[47:48], v[18:19]
	v_add_f64 v[51:52], v[49:50], -v[47:48]
	v_add_f64 v[57:58], v[45:46], v[49:50]
	s_delay_alu instid0(VALU_DEP_2) | instskip(SKIP_1) | instid1(VALU_DEP_3)
	v_add_f64 v[55:56], v[49:50], -v[51:52]
	v_add_f64 v[18:19], v[18:19], -v[51:52]
	v_ldexp_f64 v[51:52], v[57:58], -2
	v_add_f64 v[45:46], v[57:58], -v[45:46]
	s_delay_alu instid0(VALU_DEP_4) | instskip(NEXT) | instid1(VALU_DEP_3)
	v_add_f64 v[47:48], v[47:48], -v[55:56]
	v_cmp_neq_f64_e64 vcc_lo, 0x7ff00000, |v[51:52]|
	s_delay_alu instid0(VALU_DEP_3) | instskip(NEXT) | instid1(VALU_DEP_3)
	v_add_f64 v[45:46], v[49:50], -v[45:46]
	v_add_f64 v[18:19], v[18:19], v[47:48]
	v_fract_f64_e32 v[47:48], v[51:52]
	s_delay_alu instid0(VALU_DEP_1) | instskip(SKIP_1) | instid1(VALU_DEP_3)
	v_cndmask_b32_e32 v48, 0, v48, vcc_lo
	v_mul_f64 v[59:60], v[53:54], v[16:17]
	v_cndmask_b32_e32 v47, 0, v47, vcc_lo
	s_delay_alu instid0(VALU_DEP_1) | instskip(NEXT) | instid1(VALU_DEP_3)
	v_ldexp_f64 v[47:48], v[47:48], 2
	v_add_f64 v[55:56], v[59:60], v[43:44]
	v_fma_f64 v[16:17], v[53:54], v[16:17], -v[59:60]
	s_delay_alu instid0(VALU_DEP_2) | instskip(NEXT) | instid1(VALU_DEP_1)
	v_add_f64 v[49:50], v[55:56], v[18:19]
	v_add_f64 v[51:52], v[45:46], v[49:50]
	v_add_f64 v[61:62], v[49:50], -v[55:56]
	s_delay_alu instid0(VALU_DEP_2) | instskip(NEXT) | instid1(VALU_DEP_2)
	v_add_f64 v[57:58], v[51:52], v[47:48]
	v_add_f64 v[67:68], v[49:50], -v[61:62]
	v_add_f64 v[18:19], v[18:19], -v[61:62]
	;; [unrolled: 1-line block ×3, first 2 shown]
	s_delay_alu instid0(VALU_DEP_4) | instskip(SKIP_1) | instid1(VALU_DEP_3)
	v_cmp_gt_f64_e32 vcc_lo, 0, v[57:58]
	v_add_f64 v[57:58], v[55:56], -v[59:60]
	v_add_f64 v[45:46], v[49:50], -v[45:46]
	v_cndmask_b32_e64 v10, 0, 0x40100000, vcc_lo
	s_delay_alu instid0(VALU_DEP_3) | instskip(SKIP_2) | instid1(VALU_DEP_4)
	v_add_f64 v[65:66], v[55:56], -v[57:58]
	v_add_f64 v[43:44], v[43:44], -v[57:58]
	;; [unrolled: 1-line block ×3, first 2 shown]
	v_add_f64 v[47:48], v[47:48], v[9:10]
	s_delay_alu instid0(VALU_DEP_4) | instskip(NEXT) | instid1(VALU_DEP_3)
	v_add_f64 v[57:58], v[59:60], -v[65:66]
	v_add_f64 v[18:19], v[18:19], v[55:56]
	s_delay_alu instid0(VALU_DEP_3) | instskip(NEXT) | instid1(VALU_DEP_3)
	v_add_f64 v[63:64], v[51:52], v[47:48]
	v_add_f64 v[43:44], v[43:44], v[57:58]
	s_delay_alu instid0(VALU_DEP_2) | instskip(NEXT) | instid1(VALU_DEP_2)
	v_cvt_i32_f64_e32 v3, v[63:64]
	v_add_f64 v[18:19], v[43:44], v[18:19]
	s_delay_alu instid0(VALU_DEP_2) | instskip(NEXT) | instid1(VALU_DEP_2)
	v_cvt_f64_i32_e32 v[61:62], v3
	v_add_f64 v[16:17], v[16:17], v[18:19]
	s_delay_alu instid0(VALU_DEP_2) | instskip(NEXT) | instid1(VALU_DEP_2)
	v_add_f64 v[47:48], v[47:48], -v[61:62]
	v_add_f64 v[16:17], v[45:46], v[16:17]
	s_delay_alu instid0(VALU_DEP_2) | instskip(NEXT) | instid1(VALU_DEP_1)
	v_add_f64 v[43:44], v[51:52], v[47:48]
	v_add_f64 v[18:19], v[43:44], -v[47:48]
	v_cmp_le_f64_e32 vcc_lo, 0.5, v[43:44]
	s_delay_alu instid0(VALU_DEP_2) | instskip(SKIP_2) | instid1(VALU_DEP_3)
	v_add_f64 v[18:19], v[51:52], -v[18:19]
	v_cndmask_b32_e64 v10, 0, 0x3ff00000, vcc_lo
	v_add_co_ci_u32_e64 v3, s0, 0, v3, vcc_lo
	v_add_f64 v[16:17], v[16:17], v[18:19]
	s_delay_alu instid0(VALU_DEP_3) | instskip(NEXT) | instid1(VALU_DEP_1)
	v_add_f64 v[18:19], v[43:44], -v[9:10]
	v_add_f64 v[43:44], v[18:19], v[16:17]
	s_delay_alu instid0(VALU_DEP_1) | instskip(SKIP_1) | instid1(VALU_DEP_2)
	v_mul_f64 v[45:46], v[43:44], s[26:27]
	v_add_f64 v[18:19], v[43:44], -v[18:19]
	v_fma_f64 v[47:48], v[43:44], s[26:27], -v[45:46]
	s_delay_alu instid0(VALU_DEP_2) | instskip(NEXT) | instid1(VALU_DEP_2)
	v_add_f64 v[16:17], v[16:17], -v[18:19]
	v_fma_f64 v[18:19], v[43:44], s[66:67], v[47:48]
	s_delay_alu instid0(VALU_DEP_1) | instskip(NEXT) | instid1(VALU_DEP_1)
	v_fma_f64 v[18:19], v[16:17], s[26:27], v[18:19]
	v_add_f64 v[16:17], v[45:46], v[18:19]
	s_delay_alu instid0(VALU_DEP_1) | instskip(NEXT) | instid1(VALU_DEP_1)
	v_add_f64 v[43:44], v[16:17], -v[45:46]
	v_add_f64 v[18:19], v[18:19], -v[43:44]
.LBB3_35:                               ;   in Loop: Header=BB3_9 Depth=1
	s_and_not1_saveexec_b32 s26, s68
	s_cbranch_execz .LBB3_37
; %bb.36:                               ;   in Loop: Header=BB3_9 Depth=1
	v_mul_f64 v[16:17], |v[14:15]|, s[28:29]
	s_mov_b32 s68, s24
	s_mov_b32 s0, s30
	s_delay_alu instid0(VALU_DEP_1) | instskip(NEXT) | instid1(VALU_DEP_1)
	v_rndne_f64_e32 v[43:44], v[16:17]
	v_fma_f64 v[16:17], v[43:44], s[68:69], |v[14:15]|
	v_mul_f64 v[18:19], v[43:44], s[30:31]
	v_cvt_i32_f64_e32 v3, v[43:44]
	s_delay_alu instid0(VALU_DEP_3) | instskip(NEXT) | instid1(VALU_DEP_3)
	v_fma_f64 v[47:48], v[43:44], s[30:31], v[16:17]
	v_add_f64 v[45:46], v[16:17], v[18:19]
	s_delay_alu instid0(VALU_DEP_1) | instskip(NEXT) | instid1(VALU_DEP_3)
	v_add_f64 v[16:17], v[16:17], -v[45:46]
	v_add_f64 v[45:46], v[45:46], -v[47:48]
	s_delay_alu instid0(VALU_DEP_2) | instskip(SKIP_1) | instid1(VALU_DEP_2)
	v_add_f64 v[16:17], v[16:17], v[18:19]
	v_fma_f64 v[18:19], v[43:44], s[0:1], v[18:19]
	v_add_f64 v[16:17], v[45:46], v[16:17]
	s_delay_alu instid0(VALU_DEP_1) | instskip(NEXT) | instid1(VALU_DEP_1)
	v_add_f64 v[16:17], v[16:17], -v[18:19]
	v_fma_f64 v[18:19], v[43:44], s[34:35], v[16:17]
	s_delay_alu instid0(VALU_DEP_1) | instskip(NEXT) | instid1(VALU_DEP_1)
	v_add_f64 v[16:17], v[47:48], v[18:19]
	v_add_f64 v[45:46], v[16:17], -v[47:48]
	s_delay_alu instid0(VALU_DEP_1)
	v_add_f64 v[18:19], v[18:19], -v[45:46]
.LBB3_37:                               ;   in Loop: Header=BB3_9 Depth=1
	s_or_b32 exec_lo, exec_lo, s26
	v_mul_f64 v[43:44], v[16:17], v[16:17]
	s_delay_alu instid0(VALU_DEP_2) | instskip(SKIP_3) | instid1(VALU_DEP_2)
	v_add_f64 v[45:46], v[18:19], v[18:19]
	v_cmp_class_f64_e64 s0, v[14:15], 0x1f8
	v_and_b32_e32 v3, 1, v3
	v_and_b32_e32 v10, 0x80000000, v15
	v_cmp_eq_u32_e32 vcc_lo, 0, v3
	v_fma_f64 v[47:48], v[16:17], v[16:17], -v[43:44]
	s_delay_alu instid0(VALU_DEP_1) | instskip(NEXT) | instid1(VALU_DEP_1)
	v_fma_f64 v[45:46], v[16:17], v[45:46], v[47:48]
	v_add_f64 v[43:44], v[43:44], v[45:46]
	s_delay_alu instid0(VALU_DEP_1) | instskip(NEXT) | instid1(VALU_DEP_1)
	v_fma_f64 v[45:46], v[43:44], s[40:41], s[38:39]
	v_fma_f64 v[45:46], v[43:44], v[45:46], s[42:43]
	s_delay_alu instid0(VALU_DEP_1) | instskip(NEXT) | instid1(VALU_DEP_1)
	v_fma_f64 v[45:46], v[43:44], v[45:46], s[44:45]
	v_fma_f64 v[45:46], v[43:44], v[45:46], s[46:47]
	;; [unrolled: 3-line block ×6, first 2 shown]
	s_delay_alu instid0(VALU_DEP_1) | instskip(NEXT) | instid1(VALU_DEP_1)
	v_fma_f64 v[45:46], v[43:44], v[45:46], s[64:65]
	v_mul_f64 v[43:44], v[43:44], v[45:46]
	s_delay_alu instid0(VALU_DEP_1) | instskip(NEXT) | instid1(VALU_DEP_1)
	v_mul_f64 v[45:46], v[16:17], v[43:44]
	v_add_f64 v[47:48], v[16:17], v[45:46]
	v_fma_f64 v[43:44], v[16:17], v[43:44], -v[45:46]
	s_delay_alu instid0(VALU_DEP_2) | instskip(NEXT) | instid1(VALU_DEP_2)
	v_add_f64 v[16:17], v[47:48], -v[16:17]
	v_add_f64 v[18:19], v[18:19], v[43:44]
	s_delay_alu instid0(VALU_DEP_2) | instskip(NEXT) | instid1(VALU_DEP_1)
	v_add_f64 v[16:17], v[45:46], -v[16:17]
	v_add_f64 v[16:17], v[18:19], v[16:17]
	s_delay_alu instid0(VALU_DEP_1) | instskip(NEXT) | instid1(VALU_DEP_1)
	v_add_f64 v[18:19], v[47:48], v[16:17]
	v_rcp_f64_e32 v[43:44], v[18:19]
	s_waitcnt_depctr 0xfff
	v_fma_f64 v[45:46], -v[18:19], v[43:44], 1.0
	s_delay_alu instid0(VALU_DEP_1) | instskip(NEXT) | instid1(VALU_DEP_1)
	v_fma_f64 v[43:44], v[45:46], v[43:44], v[43:44]
	v_fma_f64 v[45:46], -v[18:19], v[43:44], 1.0
	s_delay_alu instid0(VALU_DEP_1) | instskip(SKIP_1) | instid1(VALU_DEP_2)
	v_fma_f64 v[43:44], v[45:46], v[43:44], v[43:44]
	v_add_f64 v[45:46], v[18:19], -v[47:48]
	v_mul_f64 v[47:48], v[18:19], v[43:44]
	s_delay_alu instid0(VALU_DEP_2) | instskip(NEXT) | instid1(VALU_DEP_2)
	v_add_f64 v[16:17], v[16:17], -v[45:46]
	v_fma_f64 v[45:46], v[43:44], v[18:19], -v[47:48]
	s_delay_alu instid0(VALU_DEP_1) | instskip(NEXT) | instid1(VALU_DEP_1)
	v_fma_f64 v[16:17], v[43:44], v[16:17], v[45:46]
	v_add_f64 v[45:46], v[47:48], v[16:17]
	s_delay_alu instid0(VALU_DEP_1) | instskip(SKIP_1) | instid1(VALU_DEP_2)
	v_add_f64 v[49:50], -v[45:46], 1.0
	v_add_f64 v[47:48], v[45:46], -v[47:48]
	v_add_f64 v[51:52], -v[49:50], 1.0
	s_delay_alu instid0(VALU_DEP_2) | instskip(NEXT) | instid1(VALU_DEP_2)
	v_add_f64 v[16:17], v[47:48], -v[16:17]
	v_add_f64 v[45:46], v[51:52], -v[45:46]
	s_delay_alu instid0(VALU_DEP_1) | instskip(NEXT) | instid1(VALU_DEP_1)
	v_add_f64 v[16:17], v[16:17], v[45:46]
	v_add_f64 v[16:17], v[49:50], v[16:17]
	s_delay_alu instid0(VALU_DEP_1) | instskip(NEXT) | instid1(VALU_DEP_1)
	v_mul_f64 v[16:17], v[43:44], v[16:17]
	v_add_f64 v[16:17], v[43:44], v[16:17]
	s_delay_alu instid0(VALU_DEP_1) | instskip(NEXT) | instid1(VALU_DEP_1)
	v_xor_b32_e32 v6, 0x80000000, v17
	v_dual_cndmask_b32 v3, v16, v18 :: v_dual_cndmask_b32 v6, v6, v19
	s_delay_alu instid0(VALU_DEP_1) | instskip(NEXT) | instid1(VALU_DEP_2)
	v_cndmask_b32_e64 v14, 0, v3, s0
	v_xor_b32_e32 v6, v6, v10
	s_delay_alu instid0(VALU_DEP_1) | instskip(NEXT) | instid1(VALU_DEP_1)
	v_cndmask_b32_e64 v15, 0x7ff80000, v6, s0
	v_fma_f64 v[14:15], s[20:21], v[14:15], s[14:15]
	global_store_b64 v5, v[14:15], s[12:13]
.LBB3_38:                               ;   in Loop: Header=BB3_9 Depth=1
	s_or_b32 exec_lo, exec_lo, s81
	v_add_co_u32 v5, vcc_lo, v11, s33
	v_add_co_ci_u32_e32 v6, vcc_lo, 0, v12, vcc_lo
	s_mov_b32 s81, exec_lo
	s_delay_alu instid0(VALU_DEP_1)
	v_cmpx_gt_i64_e64 s[16:17], v[5:6]
	s_cbranch_execz .LBB3_8
; %bb.39:                               ;   in Loop: Header=BB3_9 Depth=1
	s_and_not1_b32 vcc_lo, exec_lo, s11
	s_cbranch_vccnz .LBB3_45
; %bb.40:                               ;   in Loop: Header=BB3_9 Depth=1
	v_mov_b32_e32 v3, 0
	s_and_not1_b32 vcc_lo, exec_lo, s76
	s_cbranch_vccnz .LBB3_49
; %bb.41:                               ;   in Loop: Header=BB3_9 Depth=1
	s_and_not1_b32 vcc_lo, exec_lo, s78
	s_mov_b32 s0, 0
	s_cbranch_vccnz .LBB3_46
; %bb.42:                               ;   in Loop: Header=BB3_9 Depth=1
	v_dual_mov_b32 v3, 0 :: v_dual_mov_b32 v6, v5
	s_mov_b64 s[70:71], s[18:19]
	s_mov_b64 s[72:73], s[36:37]
.LBB3_43:                               ;   Parent Loop BB3_9 Depth=1
                                        ; =>  This Inner Loop Header: Depth=2
	s_clause 0x1
	s_load_b256 s[84:91], s[70:71], 0x4
	s_load_b128 s[92:95], s[70:71], 0x24
	s_load_b128 s[96:99], s[72:73], 0x0
	s_add_u32 s70, s70, 48
	s_addc_u32 s71, s71, 0
	s_add_i32 s0, s0, 4
	s_add_u32 s72, s72, 16
	s_addc_u32 s73, s73, 0
	s_cmp_eq_u32 s79, s0
	s_waitcnt lgkmcnt(0)
	v_mul_hi_u32 v10, s85, v6
	s_delay_alu instid0(VALU_DEP_1) | instskip(NEXT) | instid1(VALU_DEP_1)
	v_add_nc_u32_e32 v10, v6, v10
	v_lshrrev_b32_e32 v10, s86, v10
	s_delay_alu instid0(VALU_DEP_1) | instskip(SKIP_1) | instid1(VALU_DEP_2)
	v_mul_hi_u32 v14, s88, v10
	v_mul_lo_u32 v17, v10, s84
	v_add_nc_u32_e32 v14, v10, v14
	s_delay_alu instid0(VALU_DEP_2) | instskip(NEXT) | instid1(VALU_DEP_2)
	v_sub_nc_u32_e32 v17, v6, v17
	v_lshrrev_b32_e32 v14, s89, v14
	s_delay_alu instid0(VALU_DEP_2) | instskip(NEXT) | instid1(VALU_DEP_2)
	v_mul_lo_u32 v17, v17, s96
	v_mul_hi_u32 v15, s91, v14
	v_mul_lo_u32 v18, v14, s87
	s_delay_alu instid0(VALU_DEP_2) | instskip(NEXT) | instid1(VALU_DEP_2)
	v_add_nc_u32_e32 v15, v14, v15
	v_sub_nc_u32_e32 v10, v10, v18
	s_delay_alu instid0(VALU_DEP_2) | instskip(NEXT) | instid1(VALU_DEP_2)
	v_lshrrev_b32_e32 v15, s92, v15
	v_mul_lo_u32 v10, v10, s97
	s_delay_alu instid0(VALU_DEP_2) | instskip(NEXT) | instid1(VALU_DEP_2)
	v_mul_hi_u32 v16, s94, v15
	v_add3_u32 v3, v17, v3, v10
	s_delay_alu instid0(VALU_DEP_2) | instskip(NEXT) | instid1(VALU_DEP_1)
	v_add_nc_u32_e32 v16, v15, v16
	v_lshrrev_b32_e32 v6, s95, v16
	v_mul_lo_u32 v16, v15, s90
	s_delay_alu instid0(VALU_DEP_2) | instskip(NEXT) | instid1(VALU_DEP_2)
	v_mul_lo_u32 v19, v6, s93
	v_sub_nc_u32_e32 v14, v14, v16
	s_delay_alu instid0(VALU_DEP_2) | instskip(NEXT) | instid1(VALU_DEP_2)
	v_sub_nc_u32_e32 v15, v15, v19
	v_mul_lo_u32 v14, v14, s98
	s_delay_alu instid0(VALU_DEP_2) | instskip(NEXT) | instid1(VALU_DEP_1)
	v_mul_lo_u32 v15, v15, s99
	v_add3_u32 v3, v14, v3, v15
	s_cbranch_scc0 .LBB3_43
; %bb.44:                               ;   in Loop: Header=BB3_9 Depth=1
	s_mov_b32 s0, s79
	s_and_not1_b32 vcc_lo, exec_lo, s80
	s_cbranch_vccz .LBB3_47
	s_branch .LBB3_49
.LBB3_45:                               ;   in Loop: Header=BB3_9 Depth=1
                                        ; implicit-def: $vgpr3
	s_branch .LBB3_50
.LBB3_46:                               ;   in Loop: Header=BB3_9 Depth=1
	v_mov_b32_e32 v6, v5
	s_and_not1_b32 vcc_lo, exec_lo, s80
	s_cbranch_vccnz .LBB3_49
.LBB3_47:                               ;   in Loop: Header=BB3_9 Depth=1
	s_lshl_b32 s26, s0, 2
	s_mul_i32 s0, s0, 12
	s_add_u32 s70, s36, s26
	s_addc_u32 s71, s37, 0
	s_add_u32 s72, s18, s0
	s_addc_u32 s73, s19, 0
	s_mov_b32 s0, s77
	.p2align	6
.LBB3_48:                               ;   Parent Loop BB3_9 Depth=1
                                        ; =>  This Inner Loop Header: Depth=2
	s_clause 0x1
	s_load_b64 s[82:83], s[72:73], 0x4
	s_load_b32 s26, s[72:73], 0xc
	s_load_b32 s67, s[70:71], 0x0
	s_add_u32 s72, s72, 12
	s_addc_u32 s73, s73, 0
	s_add_u32 s70, s70, 4
	s_addc_u32 s71, s71, 0
	s_add_i32 s0, s0, -1
	s_delay_alu instid0(SALU_CYCLE_1) | instskip(SKIP_2) | instid1(VALU_DEP_1)
	s_cmp_lg_u32 s0, 0
	s_waitcnt lgkmcnt(0)
	v_mul_hi_u32 v10, s83, v6
	v_add_nc_u32_e32 v10, v6, v10
	s_delay_alu instid0(VALU_DEP_1) | instskip(NEXT) | instid1(VALU_DEP_1)
	v_lshrrev_b32_e32 v10, s26, v10
	v_mul_lo_u32 v14, v10, s82
	s_delay_alu instid0(VALU_DEP_1) | instskip(NEXT) | instid1(VALU_DEP_1)
	v_sub_nc_u32_e32 v6, v6, v14
	v_mad_u64_u32 v[14:15], null, v6, s67, v[3:4]
	v_mov_b32_e32 v6, v10
	s_delay_alu instid0(VALU_DEP_2)
	v_mov_b32_e32 v3, v14
	s_cbranch_scc1 .LBB3_48
.LBB3_49:                               ;   in Loop: Header=BB3_9 Depth=1
	s_cbranch_execnz .LBB3_52
.LBB3_50:                               ;   in Loop: Header=BB3_9 Depth=1
	v_mul_hi_u32 v3, v5, s6
	s_and_not1_b32 vcc_lo, exec_lo, s4
	s_delay_alu instid0(VALU_DEP_1) | instskip(NEXT) | instid1(VALU_DEP_1)
	v_add_nc_u32_e32 v3, v3, v5
	v_lshrrev_b32_e32 v6, s7, v3
	s_delay_alu instid0(VALU_DEP_1) | instskip(NEXT) | instid1(VALU_DEP_1)
	v_mul_lo_u32 v3, v6, s5
	v_sub_nc_u32_e32 v3, v5, v3
	s_delay_alu instid0(VALU_DEP_1)
	v_mul_lo_u32 v3, v3, s22
	s_cbranch_vccnz .LBB3_52
; %bb.51:                               ;   in Loop: Header=BB3_9 Depth=1
	v_mul_hi_u32 v5, s9, v6
	s_delay_alu instid0(VALU_DEP_1) | instskip(NEXT) | instid1(VALU_DEP_1)
	v_add_nc_u32_e32 v5, v6, v5
	v_lshrrev_b32_e32 v5, s10, v5
	s_delay_alu instid0(VALU_DEP_1) | instskip(NEXT) | instid1(VALU_DEP_1)
	v_mul_lo_u32 v5, v5, s8
	v_sub_nc_u32_e32 v10, v6, v5
	s_delay_alu instid0(VALU_DEP_1) | instskip(NEXT) | instid1(VALU_DEP_1)
	v_mad_u64_u32 v[5:6], null, v10, s23, v[3:4]
	v_mov_b32_e32 v3, v5
.LBB3_52:                               ;   in Loop: Header=BB3_9 Depth=1
	v_cvt_f32_u32_e32 v4, v4
                                        ; implicit-def: $vgpr6
                                        ; implicit-def: $vgpr14_vgpr15
                                        ; implicit-def: $vgpr16_vgpr17
	s_mov_b32 s26, exec_lo
	s_delay_alu instid0(VALU_DEP_1) | instskip(NEXT) | instid1(VALU_DEP_1)
	v_fmaak_f32 v4, 0x2f800000, v4, 0x2f800000
	v_cvt_f64_f32_e32 v[4:5], v4
	s_delay_alu instid0(VALU_DEP_1) | instskip(NEXT) | instid1(VALU_DEP_1)
	v_add_f64 v[4:5], v[4:5], -0.5
	v_mul_f64 v[4:5], v[4:5], s[24:25]
	s_delay_alu instid0(VALU_DEP_1)
	v_cmpx_ngt_f64_e64 0x41d00000, |v[4:5]|
	s_xor_b32 s68, exec_lo, s26
	s_cbranch_execz .LBB3_54
; %bb.53:                               ;   in Loop: Header=BB3_9 Depth=1
	v_ldexp_f64 v[14:15], |v[4:5]|, 0xffffff80
	v_cmp_le_f64_e64 vcc_lo, 0x7b000000, |v[4:5]|
	v_trig_preop_f64 v[16:17], |v[4:5]|, 0
	v_and_b32_e32 v6, 0x7fffffff, v5
	v_trig_preop_f64 v[18:19], |v[4:5]|, 1
	v_trig_preop_f64 v[51:52], |v[4:5]|, 2
	s_mov_b32 s26, s24
	s_mov_b32 s67, s1
	v_dual_cndmask_b32 v15, v6, v15 :: v_dual_cndmask_b32 v14, v4, v14
	s_delay_alu instid0(VALU_DEP_1) | instskip(NEXT) | instid1(VALU_DEP_4)
	v_mul_f64 v[43:44], v[16:17], v[14:15]
	v_mul_f64 v[45:46], v[18:19], v[14:15]
	s_delay_alu instid0(VALU_DEP_4) | instskip(NEXT) | instid1(VALU_DEP_3)
	v_mul_f64 v[57:58], v[51:52], v[14:15]
	v_fma_f64 v[16:17], v[16:17], v[14:15], -v[43:44]
	s_delay_alu instid0(VALU_DEP_3) | instskip(NEXT) | instid1(VALU_DEP_3)
	v_fma_f64 v[18:19], v[18:19], v[14:15], -v[45:46]
	v_fma_f64 v[14:15], v[51:52], v[14:15], -v[57:58]
	s_delay_alu instid0(VALU_DEP_3) | instskip(NEXT) | instid1(VALU_DEP_1)
	v_add_f64 v[47:48], v[45:46], v[16:17]
	v_add_f64 v[49:50], v[47:48], -v[45:46]
	v_add_f64 v[55:56], v[43:44], v[47:48]
	s_delay_alu instid0(VALU_DEP_2) | instskip(SKIP_1) | instid1(VALU_DEP_3)
	v_add_f64 v[53:54], v[47:48], -v[49:50]
	v_add_f64 v[16:17], v[16:17], -v[49:50]
	v_ldexp_f64 v[49:50], v[55:56], -2
	v_add_f64 v[43:44], v[55:56], -v[43:44]
	s_delay_alu instid0(VALU_DEP_4) | instskip(SKIP_1) | instid1(VALU_DEP_4)
	v_add_f64 v[45:46], v[45:46], -v[53:54]
	v_add_f64 v[53:54], v[57:58], v[18:19]
	v_cmp_neq_f64_e64 vcc_lo, 0x7ff00000, |v[49:50]|
	s_delay_alu instid0(VALU_DEP_4) | instskip(NEXT) | instid1(VALU_DEP_4)
	v_add_f64 v[43:44], v[47:48], -v[43:44]
	v_add_f64 v[16:17], v[16:17], v[45:46]
	v_fract_f64_e32 v[45:46], v[49:50]
	s_delay_alu instid0(VALU_DEP_2) | instskip(NEXT) | instid1(VALU_DEP_2)
	v_add_f64 v[47:48], v[53:54], v[16:17]
	v_dual_cndmask_b32 v46, 0, v46 :: v_dual_cndmask_b32 v45, 0, v45
	s_delay_alu instid0(VALU_DEP_1) | instskip(NEXT) | instid1(VALU_DEP_3)
	v_ldexp_f64 v[45:46], v[45:46], 2
	v_add_f64 v[49:50], v[43:44], v[47:48]
	v_add_f64 v[59:60], v[47:48], -v[53:54]
	s_delay_alu instid0(VALU_DEP_2) | instskip(NEXT) | instid1(VALU_DEP_2)
	v_add_f64 v[55:56], v[49:50], v[45:46]
	v_add_f64 v[65:66], v[47:48], -v[59:60]
	v_add_f64 v[16:17], v[16:17], -v[59:60]
	;; [unrolled: 1-line block ×3, first 2 shown]
	s_delay_alu instid0(VALU_DEP_4) | instskip(SKIP_1) | instid1(VALU_DEP_3)
	v_cmp_gt_f64_e32 vcc_lo, 0, v[55:56]
	v_add_f64 v[55:56], v[53:54], -v[57:58]
	v_add_f64 v[43:44], v[47:48], -v[43:44]
	v_cndmask_b32_e64 v10, 0, 0x40100000, vcc_lo
	s_delay_alu instid0(VALU_DEP_3) | instskip(SKIP_2) | instid1(VALU_DEP_4)
	v_add_f64 v[63:64], v[53:54], -v[55:56]
	v_add_f64 v[18:19], v[18:19], -v[55:56]
	;; [unrolled: 1-line block ×3, first 2 shown]
	v_add_f64 v[45:46], v[45:46], v[9:10]
	s_delay_alu instid0(VALU_DEP_4) | instskip(NEXT) | instid1(VALU_DEP_3)
	v_add_f64 v[55:56], v[57:58], -v[63:64]
	v_add_f64 v[16:17], v[16:17], v[53:54]
	s_delay_alu instid0(VALU_DEP_3) | instskip(NEXT) | instid1(VALU_DEP_3)
	v_add_f64 v[61:62], v[49:50], v[45:46]
	v_add_f64 v[18:19], v[18:19], v[55:56]
	s_delay_alu instid0(VALU_DEP_2) | instskip(NEXT) | instid1(VALU_DEP_2)
	v_cvt_i32_f64_e32 v6, v[61:62]
	v_add_f64 v[16:17], v[18:19], v[16:17]
	s_delay_alu instid0(VALU_DEP_2) | instskip(NEXT) | instid1(VALU_DEP_2)
	v_cvt_f64_i32_e32 v[59:60], v6
	v_add_f64 v[14:15], v[14:15], v[16:17]
	s_delay_alu instid0(VALU_DEP_2) | instskip(NEXT) | instid1(VALU_DEP_2)
	v_add_f64 v[45:46], v[45:46], -v[59:60]
	v_add_f64 v[14:15], v[43:44], v[14:15]
	s_delay_alu instid0(VALU_DEP_2) | instskip(NEXT) | instid1(VALU_DEP_1)
	v_add_f64 v[18:19], v[49:50], v[45:46]
	v_add_f64 v[16:17], v[18:19], -v[45:46]
	v_cmp_le_f64_e32 vcc_lo, 0.5, v[18:19]
	s_delay_alu instid0(VALU_DEP_2) | instskip(SKIP_2) | instid1(VALU_DEP_3)
	v_add_f64 v[16:17], v[49:50], -v[16:17]
	v_cndmask_b32_e64 v10, 0, 0x3ff00000, vcc_lo
	v_add_co_ci_u32_e64 v6, s0, 0, v6, vcc_lo
	v_add_f64 v[14:15], v[14:15], v[16:17]
	s_delay_alu instid0(VALU_DEP_3) | instskip(NEXT) | instid1(VALU_DEP_1)
	v_add_f64 v[16:17], v[18:19], -v[9:10]
	v_add_f64 v[18:19], v[16:17], v[14:15]
	s_delay_alu instid0(VALU_DEP_1) | instskip(SKIP_1) | instid1(VALU_DEP_2)
	v_mul_f64 v[43:44], v[18:19], s[26:27]
	v_add_f64 v[16:17], v[18:19], -v[16:17]
	v_fma_f64 v[45:46], v[18:19], s[26:27], -v[43:44]
	s_delay_alu instid0(VALU_DEP_2) | instskip(NEXT) | instid1(VALU_DEP_2)
	v_add_f64 v[14:15], v[14:15], -v[16:17]
	v_fma_f64 v[16:17], v[18:19], s[66:67], v[45:46]
	s_delay_alu instid0(VALU_DEP_1) | instskip(NEXT) | instid1(VALU_DEP_1)
	v_fma_f64 v[16:17], v[14:15], s[26:27], v[16:17]
	v_add_f64 v[14:15], v[43:44], v[16:17]
	s_delay_alu instid0(VALU_DEP_1) | instskip(NEXT) | instid1(VALU_DEP_1)
	v_add_f64 v[18:19], v[14:15], -v[43:44]
	v_add_f64 v[16:17], v[16:17], -v[18:19]
.LBB3_54:                               ;   in Loop: Header=BB3_9 Depth=1
	s_and_not1_saveexec_b32 s26, s68
	s_cbranch_execz .LBB3_7
; %bb.55:                               ;   in Loop: Header=BB3_9 Depth=1
	v_mul_f64 v[14:15], |v[4:5]|, s[28:29]
	s_mov_b32 s68, s24
	s_mov_b32 s0, s30
	s_delay_alu instid0(VALU_DEP_1) | instskip(NEXT) | instid1(VALU_DEP_1)
	v_rndne_f64_e32 v[18:19], v[14:15]
	v_fma_f64 v[14:15], v[18:19], s[68:69], |v[4:5]|
	v_mul_f64 v[16:17], v[18:19], s[30:31]
	v_cvt_i32_f64_e32 v6, v[18:19]
	s_delay_alu instid0(VALU_DEP_3) | instskip(NEXT) | instid1(VALU_DEP_3)
	v_fma_f64 v[45:46], v[18:19], s[30:31], v[14:15]
	v_add_f64 v[43:44], v[14:15], v[16:17]
	s_delay_alu instid0(VALU_DEP_1) | instskip(NEXT) | instid1(VALU_DEP_3)
	v_add_f64 v[14:15], v[14:15], -v[43:44]
	v_add_f64 v[43:44], v[43:44], -v[45:46]
	s_delay_alu instid0(VALU_DEP_2) | instskip(SKIP_1) | instid1(VALU_DEP_2)
	v_add_f64 v[14:15], v[14:15], v[16:17]
	v_fma_f64 v[16:17], v[18:19], s[0:1], v[16:17]
	v_add_f64 v[14:15], v[43:44], v[14:15]
	s_delay_alu instid0(VALU_DEP_1) | instskip(NEXT) | instid1(VALU_DEP_1)
	v_add_f64 v[14:15], v[14:15], -v[16:17]
	v_fma_f64 v[16:17], v[18:19], s[34:35], v[14:15]
	s_delay_alu instid0(VALU_DEP_1) | instskip(NEXT) | instid1(VALU_DEP_1)
	v_add_f64 v[14:15], v[45:46], v[16:17]
	v_add_f64 v[43:44], v[14:15], -v[45:46]
	s_delay_alu instid0(VALU_DEP_1)
	v_add_f64 v[16:17], v[16:17], -v[43:44]
	s_branch .LBB3_7
.LBB3_56:
	s_endpgm
.LBB3_57:
                                        ; implicit-def: $sgpr2_sgpr3
	s_branch .LBB3_4
	.section	.rodata,"a",@progbits
	.p2align	6, 0x0
	.amdhsa_kernel _ZN2at6native12_GLOBAL__N_143distribution_elementwise_grid_stride_kernelIdLi2EZNS0_9templates4cuda21uniform_and_transformIddPNS_17CUDAGeneratorImplEZZZNS4_13cauchy_kernelIS7_EEvRNS_18TensorIteratorBaseEddT_ENKUlvE_clEvENKUlvE_clEvEUldE_EEvSA_T1_T2_EUlP25hiprandStatePhilox4_32_10E0_ZNS1_27distribution_nullary_kernelIdd15HIP_vector_typeIfLj4EES7_SJ_SE_EEvSA_SG_RKT3_T4_EUlidE0_EEvlNS_15PhiloxCudaStateESF_SG_
		.amdhsa_group_segment_fixed_size 0
		.amdhsa_private_segment_fixed_size 0
		.amdhsa_kernarg_size 592
		.amdhsa_user_sgpr_count 15
		.amdhsa_user_sgpr_dispatch_ptr 0
		.amdhsa_user_sgpr_queue_ptr 0
		.amdhsa_user_sgpr_kernarg_segment_ptr 1
		.amdhsa_user_sgpr_dispatch_id 0
		.amdhsa_user_sgpr_private_segment_size 0
		.amdhsa_wavefront_size32 1
		.amdhsa_uses_dynamic_stack 0
		.amdhsa_enable_private_segment 0
		.amdhsa_system_sgpr_workgroup_id_x 1
		.amdhsa_system_sgpr_workgroup_id_y 0
		.amdhsa_system_sgpr_workgroup_id_z 0
		.amdhsa_system_sgpr_workgroup_info 0
		.amdhsa_system_vgpr_workitem_id 0
		.amdhsa_next_free_vgpr 69
		.amdhsa_next_free_sgpr 100
		.amdhsa_reserve_vcc 1
		.amdhsa_float_round_mode_32 0
		.amdhsa_float_round_mode_16_64 0
		.amdhsa_float_denorm_mode_32 3
		.amdhsa_float_denorm_mode_16_64 3
		.amdhsa_dx10_clamp 1
		.amdhsa_ieee_mode 1
		.amdhsa_fp16_overflow 0
		.amdhsa_workgroup_processor_mode 1
		.amdhsa_memory_ordered 1
		.amdhsa_forward_progress 0
		.amdhsa_shared_vgpr_count 0
		.amdhsa_exception_fp_ieee_invalid_op 0
		.amdhsa_exception_fp_denorm_src 0
		.amdhsa_exception_fp_ieee_div_zero 0
		.amdhsa_exception_fp_ieee_overflow 0
		.amdhsa_exception_fp_ieee_underflow 0
		.amdhsa_exception_fp_ieee_inexact 0
		.amdhsa_exception_int_div_zero 0
	.end_amdhsa_kernel
	.section	.text._ZN2at6native12_GLOBAL__N_143distribution_elementwise_grid_stride_kernelIdLi2EZNS0_9templates4cuda21uniform_and_transformIddPNS_17CUDAGeneratorImplEZZZNS4_13cauchy_kernelIS7_EEvRNS_18TensorIteratorBaseEddT_ENKUlvE_clEvENKUlvE_clEvEUldE_EEvSA_T1_T2_EUlP25hiprandStatePhilox4_32_10E0_ZNS1_27distribution_nullary_kernelIdd15HIP_vector_typeIfLj4EES7_SJ_SE_EEvSA_SG_RKT3_T4_EUlidE0_EEvlNS_15PhiloxCudaStateESF_SG_,"axG",@progbits,_ZN2at6native12_GLOBAL__N_143distribution_elementwise_grid_stride_kernelIdLi2EZNS0_9templates4cuda21uniform_and_transformIddPNS_17CUDAGeneratorImplEZZZNS4_13cauchy_kernelIS7_EEvRNS_18TensorIteratorBaseEddT_ENKUlvE_clEvENKUlvE_clEvEUldE_EEvSA_T1_T2_EUlP25hiprandStatePhilox4_32_10E0_ZNS1_27distribution_nullary_kernelIdd15HIP_vector_typeIfLj4EES7_SJ_SE_EEvSA_SG_RKT3_T4_EUlidE0_EEvlNS_15PhiloxCudaStateESF_SG_,comdat
.Lfunc_end3:
	.size	_ZN2at6native12_GLOBAL__N_143distribution_elementwise_grid_stride_kernelIdLi2EZNS0_9templates4cuda21uniform_and_transformIddPNS_17CUDAGeneratorImplEZZZNS4_13cauchy_kernelIS7_EEvRNS_18TensorIteratorBaseEddT_ENKUlvE_clEvENKUlvE_clEvEUldE_EEvSA_T1_T2_EUlP25hiprandStatePhilox4_32_10E0_ZNS1_27distribution_nullary_kernelIdd15HIP_vector_typeIfLj4EES7_SJ_SE_EEvSA_SG_RKT3_T4_EUlidE0_EEvlNS_15PhiloxCudaStateESF_SG_, .Lfunc_end3-_ZN2at6native12_GLOBAL__N_143distribution_elementwise_grid_stride_kernelIdLi2EZNS0_9templates4cuda21uniform_and_transformIddPNS_17CUDAGeneratorImplEZZZNS4_13cauchy_kernelIS7_EEvRNS_18TensorIteratorBaseEddT_ENKUlvE_clEvENKUlvE_clEvEUldE_EEvSA_T1_T2_EUlP25hiprandStatePhilox4_32_10E0_ZNS1_27distribution_nullary_kernelIdd15HIP_vector_typeIfLj4EES7_SJ_SE_EEvSA_SG_RKT3_T4_EUlidE0_EEvlNS_15PhiloxCudaStateESF_SG_
                                        ; -- End function
	.section	.AMDGPU.csdata,"",@progbits
; Kernel info:
; codeLenInByte = 7012
; NumSgprs: 102
; NumVgprs: 69
; ScratchSize: 0
; MemoryBound: 0
; FloatMode: 240
; IeeeMode: 1
; LDSByteSize: 0 bytes/workgroup (compile time only)
; SGPRBlocks: 12
; VGPRBlocks: 8
; NumSGPRsForWavesPerEU: 102
; NumVGPRsForWavesPerEU: 69
; Occupancy: 16
; WaveLimiterHint : 1
; COMPUTE_PGM_RSRC2:SCRATCH_EN: 0
; COMPUTE_PGM_RSRC2:USER_SGPR: 15
; COMPUTE_PGM_RSRC2:TRAP_HANDLER: 0
; COMPUTE_PGM_RSRC2:TGID_X_EN: 1
; COMPUTE_PGM_RSRC2:TGID_Y_EN: 0
; COMPUTE_PGM_RSRC2:TGID_Z_EN: 0
; COMPUTE_PGM_RSRC2:TIDIG_COMP_CNT: 0
	.section	.text._ZN2at6native12_GLOBAL__N_143distribution_elementwise_grid_stride_kernelIfLi4EZNS0_9templates4cuda21uniform_and_transformIffPNS_17CUDAGeneratorImplEZZZNS4_13cauchy_kernelIS7_EEvRNS_18TensorIteratorBaseEddT_ENKUlvE_clEvENKUlvE0_clEvEUlfE_EEvSA_T1_T2_EUlP25hiprandStatePhilox4_32_10E_ZNS1_27distribution_nullary_kernelIff15HIP_vector_typeIdLj2EES7_SJ_SE_EEvSA_SG_RKT3_T4_EUlifE_EEvlNS_15PhiloxCudaStateESF_SG_,"axG",@progbits,_ZN2at6native12_GLOBAL__N_143distribution_elementwise_grid_stride_kernelIfLi4EZNS0_9templates4cuda21uniform_and_transformIffPNS_17CUDAGeneratorImplEZZZNS4_13cauchy_kernelIS7_EEvRNS_18TensorIteratorBaseEddT_ENKUlvE_clEvENKUlvE0_clEvEUlfE_EEvSA_T1_T2_EUlP25hiprandStatePhilox4_32_10E_ZNS1_27distribution_nullary_kernelIff15HIP_vector_typeIdLj2EES7_SJ_SE_EEvSA_SG_RKT3_T4_EUlifE_EEvlNS_15PhiloxCudaStateESF_SG_,comdat
	.globl	_ZN2at6native12_GLOBAL__N_143distribution_elementwise_grid_stride_kernelIfLi4EZNS0_9templates4cuda21uniform_and_transformIffPNS_17CUDAGeneratorImplEZZZNS4_13cauchy_kernelIS7_EEvRNS_18TensorIteratorBaseEddT_ENKUlvE_clEvENKUlvE0_clEvEUlfE_EEvSA_T1_T2_EUlP25hiprandStatePhilox4_32_10E_ZNS1_27distribution_nullary_kernelIff15HIP_vector_typeIdLj2EES7_SJ_SE_EEvSA_SG_RKT3_T4_EUlifE_EEvlNS_15PhiloxCudaStateESF_SG_ ; -- Begin function _ZN2at6native12_GLOBAL__N_143distribution_elementwise_grid_stride_kernelIfLi4EZNS0_9templates4cuda21uniform_and_transformIffPNS_17CUDAGeneratorImplEZZZNS4_13cauchy_kernelIS7_EEvRNS_18TensorIteratorBaseEddT_ENKUlvE_clEvENKUlvE0_clEvEUlfE_EEvSA_T1_T2_EUlP25hiprandStatePhilox4_32_10E_ZNS1_27distribution_nullary_kernelIff15HIP_vector_typeIdLj2EES7_SJ_SE_EEvSA_SG_RKT3_T4_EUlifE_EEvlNS_15PhiloxCudaStateESF_SG_
	.p2align	8
	.type	_ZN2at6native12_GLOBAL__N_143distribution_elementwise_grid_stride_kernelIfLi4EZNS0_9templates4cuda21uniform_and_transformIffPNS_17CUDAGeneratorImplEZZZNS4_13cauchy_kernelIS7_EEvRNS_18TensorIteratorBaseEddT_ENKUlvE_clEvENKUlvE0_clEvEUlfE_EEvSA_T1_T2_EUlP25hiprandStatePhilox4_32_10E_ZNS1_27distribution_nullary_kernelIff15HIP_vector_typeIdLj2EES7_SJ_SE_EEvSA_SG_RKT3_T4_EUlifE_EEvlNS_15PhiloxCudaStateESF_SG_,@function
_ZN2at6native12_GLOBAL__N_143distribution_elementwise_grid_stride_kernelIfLi4EZNS0_9templates4cuda21uniform_and_transformIffPNS_17CUDAGeneratorImplEZZZNS4_13cauchy_kernelIS7_EEvRNS_18TensorIteratorBaseEddT_ENKUlvE_clEvENKUlvE0_clEvEUlfE_EEvSA_T1_T2_EUlP25hiprandStatePhilox4_32_10E_ZNS1_27distribution_nullary_kernelIff15HIP_vector_typeIdLj2EES7_SJ_SE_EEvSA_SG_RKT3_T4_EUlifE_EEvlNS_15PhiloxCudaStateESF_SG_: ; @_ZN2at6native12_GLOBAL__N_143distribution_elementwise_grid_stride_kernelIfLi4EZNS0_9templates4cuda21uniform_and_transformIffPNS_17CUDAGeneratorImplEZZZNS4_13cauchy_kernelIS7_EEvRNS_18TensorIteratorBaseEddT_ENKUlvE_clEvENKUlvE0_clEvEUlfE_EEvSA_T1_T2_EUlP25hiprandStatePhilox4_32_10E_ZNS1_27distribution_nullary_kernelIff15HIP_vector_typeIdLj2EES7_SJ_SE_EEvSA_SG_RKT3_T4_EUlifE_EEvlNS_15PhiloxCudaStateESF_SG_
; %bb.0:
	s_clause 0x2
	s_load_b64 s[8:9], s[0:1], 0x10
	s_load_b128 s[4:7], s[0:1], 0x0
	s_load_b32 s2, s[0:1], 0x20
	s_waitcnt lgkmcnt(0)
	v_dual_mov_b32 v2, s8 :: v_dual_mov_b32 v3, s9
	v_dual_mov_b32 v11, s7 :: v_dual_mov_b32 v10, s6
	s_bitcmp0_b32 s2, 0
	s_mov_b32 s2, 0
	s_cbranch_scc1 .LBB4_2
; %bb.1:
	v_dual_mov_b32 v1, s8 :: v_dual_mov_b32 v2, s9
	v_dual_mov_b32 v4, s6 :: v_dual_mov_b32 v5, s7
	s_load_b64 s[6:7], s[0:1], 0x18
	flat_load_b64 v[2:3], v[1:2]
	flat_load_b64 v[10:11], v[4:5]
	s_waitcnt vmcnt(1) lgkmcnt(0)
	v_add_co_u32 v2, vcc_lo, v2, s6
	v_add_co_ci_u32_e32 v3, vcc_lo, s7, v3, vcc_lo
.LBB4_2:
	s_clause 0x1
	s_load_b32 s3, s[0:1], 0x54
	s_load_b32 s18, s[0:1], 0x48
	s_waitcnt lgkmcnt(0)
	s_and_b32 s17, s3, 0xffff
	s_add_u32 s6, s4, -1
	s_mul_i32 s14, s18, s17
	s_addc_u32 s3, s5, -1
	s_lshl_b32 s16, s14, 2
	s_cmp_lg_u64 s[2:3], 0
	s_cbranch_scc0 .LBB4_31
; %bb.3:
	v_cvt_f32_ubyte0_e32 v1, 0
	v_cvt_f32_u32_e32 v4, s16
	s_sub_u32 s8, 0, s16
	s_subb_u32 s9, 0, 0
	s_delay_alu instid0(VALU_DEP_1) | instskip(NEXT) | instid1(VALU_DEP_1)
	v_fmamk_f32 v1, v1, 0x4f800000, v4
	v_rcp_f32_e32 v1, v1
	s_waitcnt_depctr 0xfff
	v_mul_f32_e32 v1, 0x5f7ffffc, v1
	s_delay_alu instid0(VALU_DEP_1) | instskip(NEXT) | instid1(VALU_DEP_1)
	v_mul_f32_e32 v4, 0x2f800000, v1
	v_trunc_f32_e32 v4, v4
	s_delay_alu instid0(VALU_DEP_1) | instskip(SKIP_1) | instid1(VALU_DEP_2)
	v_fmamk_f32 v1, v4, 0xcf800000, v1
	v_cvt_u32_f32_e32 v4, v4
	v_cvt_u32_f32_e32 v1, v1
	s_delay_alu instid0(VALU_DEP_2) | instskip(NEXT) | instid1(VALU_DEP_2)
	v_readfirstlane_b32 s2, v4
	v_readfirstlane_b32 s7, v1
	s_delay_alu instid0(VALU_DEP_2) | instskip(NEXT) | instid1(VALU_DEP_1)
	s_mul_i32 s10, s8, s2
	s_mul_hi_u32 s12, s8, s7
	s_mul_i32 s11, s9, s7
	s_add_i32 s10, s12, s10
	s_mul_i32 s13, s8, s7
	s_add_i32 s10, s10, s11
	s_mul_hi_u32 s12, s7, s13
	s_mul_hi_u32 s19, s2, s13
	s_mul_i32 s11, s2, s13
	s_mul_hi_u32 s13, s7, s10
	s_mul_i32 s7, s7, s10
	s_mul_hi_u32 s20, s2, s10
	s_add_u32 s7, s12, s7
	s_addc_u32 s12, 0, s13
	s_add_u32 s7, s7, s11
	s_mul_i32 s10, s2, s10
	s_addc_u32 s7, s12, s19
	s_addc_u32 s11, s20, 0
	s_add_u32 s7, s7, s10
	s_addc_u32 s10, 0, s11
	v_add_co_u32 v1, s7, v1, s7
	s_delay_alu instid0(VALU_DEP_1) | instskip(SKIP_1) | instid1(VALU_DEP_1)
	s_cmp_lg_u32 s7, 0
	s_addc_u32 s2, s2, s10
	v_readfirstlane_b32 s7, v1
	s_mul_i32 s10, s8, s2
	s_delay_alu instid0(VALU_DEP_1)
	s_mul_hi_u32 s11, s8, s7
	s_mul_i32 s9, s9, s7
	s_add_i32 s10, s11, s10
	s_mul_i32 s8, s8, s7
	s_add_i32 s10, s10, s9
	s_mul_hi_u32 s11, s2, s8
	s_mul_i32 s12, s2, s8
	s_mul_hi_u32 s8, s7, s8
	s_mul_hi_u32 s13, s7, s10
	s_mul_i32 s7, s7, s10
	s_mul_hi_u32 s9, s2, s10
	s_add_u32 s7, s8, s7
	s_addc_u32 s8, 0, s13
	s_add_u32 s7, s7, s12
	s_mul_i32 s10, s2, s10
	s_addc_u32 s7, s8, s11
	s_addc_u32 s8, s9, 0
	s_add_u32 s7, s7, s10
	s_addc_u32 s8, 0, s8
	v_add_co_u32 v1, s7, v1, s7
	s_delay_alu instid0(VALU_DEP_1) | instskip(SKIP_2) | instid1(VALU_DEP_1)
	s_cmp_lg_u32 s7, 0
	s_addc_u32 s7, s2, s8
	s_ashr_i32 s8, s3, 31
	v_readfirstlane_b32 s10, v1
	s_add_u32 s2, s6, s8
	s_mov_b32 s9, s8
	s_addc_u32 s3, s3, s8
	s_delay_alu instid0(SALU_CYCLE_1) | instskip(NEXT) | instid1(SALU_CYCLE_1)
	s_xor_b64 s[2:3], s[2:3], s[8:9]
	s_mul_i32 s12, s2, s7
	s_mul_hi_u32 s13, s2, s10
	s_mul_hi_u32 s11, s2, s7
	;; [unrolled: 1-line block ×3, first 2 shown]
	s_mul_i32 s10, s3, s10
	s_add_u32 s12, s13, s12
	s_addc_u32 s11, 0, s11
	s_mul_hi_u32 s19, s3, s7
	s_add_u32 s10, s12, s10
	s_mul_i32 s7, s3, s7
	s_addc_u32 s10, s11, s20
	s_addc_u32 s11, s19, 0
	s_add_u32 s7, s10, s7
	s_addc_u32 s10, 0, s11
	s_mul_i32 s12, s16, s7
	s_add_u32 s11, s7, 1
	v_sub_co_u32 v1, s2, s2, s12
	s_mul_hi_u32 s12, s16, s7
	s_addc_u32 s13, s10, 0
	s_mul_i32 s19, s16, s10
	s_delay_alu instid0(VALU_DEP_1)
	v_sub_co_u32 v4, s20, v1, s16
	s_add_u32 s21, s7, 2
	s_addc_u32 s22, s10, 0
	s_add_i32 s12, s12, s19
	s_cmp_lg_u32 s2, 0
	v_readfirstlane_b32 s2, v4
	s_subb_u32 s3, s3, s12
	s_cmp_lg_u32 s20, 0
	s_subb_u32 s12, s3, 0
	s_delay_alu instid0(VALU_DEP_1) | instskip(SKIP_4) | instid1(SALU_CYCLE_1)
	s_cmp_ge_u32 s2, s16
	s_cselect_b32 s2, -1, 0
	s_cmp_eq_u32 s12, 0
	v_readfirstlane_b32 s12, v1
	s_cselect_b32 s2, s2, -1
	s_cmp_lg_u32 s2, 0
	s_cselect_b32 s2, s21, s11
	s_cselect_b32 s11, s22, s13
	s_cmp_ge_u32 s12, s16
	s_cselect_b32 s12, -1, 0
	s_cmp_eq_u32 s3, 0
	s_cselect_b32 s3, s12, -1
	s_delay_alu instid0(SALU_CYCLE_1) | instskip(SKIP_2) | instid1(SALU_CYCLE_1)
	s_cmp_lg_u32 s3, 0
	s_cselect_b32 s3, s11, s10
	s_cselect_b32 s2, s2, s7
	s_xor_b64 s[2:3], s[2:3], s[8:9]
	s_delay_alu instid0(SALU_CYCLE_1)
	s_sub_u32 s2, s2, s8
	s_subb_u32 s3, s3, s8
	s_cbranch_execnz .LBB4_5
.LBB4_4:
	v_cvt_f32_u32_e32 v1, s16
	s_sub_i32 s3, 0, s16
	s_delay_alu instid0(VALU_DEP_1) | instskip(SKIP_2) | instid1(VALU_DEP_1)
	v_rcp_iflag_f32_e32 v1, v1
	s_waitcnt_depctr 0xfff
	v_mul_f32_e32 v1, 0x4f7ffffe, v1
	v_cvt_u32_f32_e32 v1, v1
	s_delay_alu instid0(VALU_DEP_1) | instskip(NEXT) | instid1(VALU_DEP_1)
	v_readfirstlane_b32 s2, v1
	s_mul_i32 s3, s3, s2
	s_delay_alu instid0(SALU_CYCLE_1) | instskip(NEXT) | instid1(SALU_CYCLE_1)
	s_mul_hi_u32 s3, s2, s3
	s_add_i32 s2, s2, s3
	s_delay_alu instid0(SALU_CYCLE_1) | instskip(NEXT) | instid1(SALU_CYCLE_1)
	s_mul_hi_u32 s2, s6, s2
	s_mul_i32 s3, s2, s16
	s_delay_alu instid0(SALU_CYCLE_1)
	s_sub_i32 s3, s6, s3
	s_add_i32 s6, s2, 1
	s_sub_i32 s7, s3, s16
	s_cmp_ge_u32 s3, s16
	s_cselect_b32 s2, s6, s2
	s_cselect_b32 s3, s7, s3
	s_add_i32 s6, s2, 1
	s_cmp_ge_u32 s3, s16
	s_mov_b32 s3, 0
	s_cselect_b32 s2, s6, s2
.LBB4_5:
	v_mov_b32_e32 v1, 0
	s_add_u32 s2, s2, 1
	s_addc_u32 s3, s3, 0
	s_mul_hi_u32 s6, s14, s2
	s_mul_i32 s3, s14, s3
	v_mad_u64_u32 v[12:13], null, s17, s15, v[0:1]
	s_mul_hi_u32 s7, s18, s17
	s_add_i32 s3, s6, s3
	s_mul_i32 s7, s7, s2
	s_mul_i32 s2, s14, s2
	s_add_i32 s3, s3, s7
	s_delay_alu instid0(SALU_CYCLE_1)
	s_lshl_b64 s[6:7], s[2:3], 2
	s_mov_b32 s2, exec_lo
	v_cmpx_gt_i64_e64 s[6:7], v[12:13]
	s_cbranch_execz .LBB4_30
; %bb.6:
	v_alignbit_b32 v16, v3, v2, 2
	v_mad_u64_u32 v[6:7], null, 0xcd9e8d57, v12, 0
	v_lshrrev_b32_e32 v17, 2, v3
	s_waitcnt vmcnt(0)
	v_dual_mov_b32 v36, v11 :: v_dual_add_nc_u32 v33, 0x8ff34781, v10
	v_mad_u64_u32 v[4:5], null, 0xd2511f53, v16, 0
	v_add_co_u32 v19, null, 0x9e3779b9, v10
	s_delay_alu instid0(VALU_DEP_3) | instskip(SKIP_1) | instid1(VALU_DEP_4)
	v_add_co_u32 v18, null, 0xbb67ae85, v36
	v_add_co_u32 v20, null, 0x3c6ef372, v10
	v_xor_b32_e32 v3, v5, v11
	v_xor3_b32 v5, v10, v7, v17
	v_add_co_u32 v21, null, 0x76cf5d0a, v36
	v_add_co_u32 v22, null, 0x32370b8f, v36
	s_delay_alu instid0(VALU_DEP_4) | instskip(NEXT) | instid1(VALU_DEP_4)
	v_xor_b32_e32 v3, v3, v13
	v_mad_u64_u32 v[7:8], null, 0xd2511f53, v5, 0
	v_add_co_u32 v23, null, 0xdaa66d2b, v10
	s_delay_alu instid0(VALU_DEP_3) | instskip(SKIP_1) | instid1(VALU_DEP_4)
	v_mad_u64_u32 v[14:15], null, 0xcd9e8d57, v3, 0
	v_add_co_u32 v24, null, 0x78dde6e4, v10
	v_xor3_b32 v5, v18, v8, v4
	v_add_co_u32 v25, null, 0xed9eba14, v36
	v_add_co_u32 v26, null, 0xa9066899, v36
	v_xor3_b32 v8, v19, v15, v6
	s_delay_alu instid0(VALU_DEP_4) | instskip(SKIP_1) | instid1(VALU_DEP_3)
	v_mad_u64_u32 v[3:4], null, 0xcd9e8d57, v5, 0
	v_add_co_u32 v27, null, 0x1715609d, v10
	v_mad_u64_u32 v[5:6], null, 0xd2511f53, v8, 0
	v_add_co_u32 v28, null, 0xb54cda56, v10
	s_delay_alu instid0(VALU_DEP_4) | instskip(SKIP_3) | instid1(VALU_DEP_4)
	v_xor3_b32 v4, v20, v4, v14
	v_add_co_u32 v29, null, 0x646e171e, v36
	v_add_co_u32 v30, null, 0x1fd5c5a3, v36
	v_xor3_b32 v14, v21, v6, v7
	v_mad_u64_u32 v[6:7], null, 0xd2511f53, v4, 0
	v_add_co_u32 v31, null, 0x5384540f, v10
	s_delay_alu instid0(VALU_DEP_3) | instskip(SKIP_1) | instid1(VALU_DEP_4)
	v_mad_u64_u32 v[8:9], null, 0xcd9e8d57, v14, 0
	v_dual_mov_b32 v37, v12 :: v_dual_and_b32 v32, 3, v2
	v_xor3_b32 v5, v22, v7, v5
	s_clause 0x1
	s_load_b128 s[8:11], s[0:1], 0x38
	s_load_b64 s[12:13], s[0:1], 0x30
	v_add_co_u32 v35, null, 0xf1bbcdc8, v10
	s_delay_alu instid0(VALU_DEP_4) | instskip(SKIP_2) | instid1(VALU_DEP_3)
	v_xor3_b32 v7, v23, v9, v3
	v_mad_u64_u32 v[3:4], null, 0xcd9e8d57, v5, 0
	v_add_co_u32 v36, null, 0xdb3d7428, v36
	v_mad_u64_u32 v[14:15], null, 0xd2511f53, v7, 0
	v_add_nc_u32_e32 v34, 0x96a522ad, v11
	s_mov_b32 s3, 0
	s_delay_alu instid0(VALU_DEP_4) | instskip(SKIP_2) | instid1(VALU_DEP_3)
	v_xor3_b32 v7, v24, v4, v8
	s_waitcnt lgkmcnt(0)
	s_mov_b32 s11, 0x7fffff
	v_xor3_b32 v8, v25, v15, v6
	s_delay_alu instid0(VALU_DEP_2) | instskip(SKIP_1) | instid1(VALU_DEP_2)
	v_mad_u64_u32 v[4:5], null, 0xd2511f53, v7, 0
	s_mul_i32 s0, s18, s8
	v_mad_u64_u32 v[6:7], null, 0xcd9e8d57, v8, 0
	s_mul_i32 s0, s0, s17
	s_delay_alu instid0(VALU_DEP_2) | instskip(NEXT) | instid1(VALU_DEP_2)
	v_xor3_b32 v5, v26, v5, v14
	v_xor3_b32 v3, v27, v7, v3
	s_delay_alu instid0(VALU_DEP_2) | instskip(NEXT) | instid1(VALU_DEP_2)
	v_mad_u64_u32 v[7:8], null, 0xcd9e8d57, v5, 0
	v_mad_u64_u32 v[14:15], null, 0xd2511f53, v3, 0
	s_delay_alu instid0(VALU_DEP_2) | instskip(NEXT) | instid1(VALU_DEP_2)
	v_xor3_b32 v5, v28, v8, v6
	v_xor3_b32 v8, v29, v15, v4
	s_delay_alu instid0(VALU_DEP_2) | instskip(NEXT) | instid1(VALU_DEP_2)
	v_mad_u64_u32 v[3:4], null, 0xd2511f53, v5, 0
	v_mad_u64_u32 v[5:6], null, 0xcd9e8d57, v8, 0
	;; [unrolled: 1-line block ×3, first 2 shown]
	s_delay_alu instid0(VALU_DEP_3) | instskip(SKIP_2) | instid1(VALU_DEP_3)
	v_xor3_b32 v2, v30, v4, v14
	s_add_i32 s15, s15, s18
	s_mov_b32 s18, 0
	v_xor3_b32 v4, v31, v6, v7
	s_delay_alu instid0(VALU_DEP_2) | instskip(NEXT) | instid1(VALU_DEP_4)
	v_mad_u64_u32 v[14:15], null, 0xcd9e8d57, v2, 0
	v_mul_lo_u32 v38, s8, v8
	s_delay_alu instid0(VALU_DEP_3) | instskip(NEXT) | instid1(VALU_DEP_3)
	v_mad_u64_u32 v[40:41], null, 0xd2511f53, v4, 0
	v_xor3_b32 v5, v35, v15, v5
	s_delay_alu instid0(VALU_DEP_2) | instskip(SKIP_1) | instid1(VALU_DEP_3)
	v_xor3_b32 v9, v36, v41, v3
	v_mad_u64_u32 v[2:3], null, s15, s17, v[0:1]
	v_mad_u64_u32 v[3:4], null, 0xd2511f53, v5, 0
	s_delay_alu instid0(VALU_DEP_3) | instskip(SKIP_2) | instid1(VALU_DEP_3)
	v_mad_u64_u32 v[6:7], null, 0xcd9e8d57, v9, 0
	s_mov_b32 s15, 0xbc8cedd3
	s_mov_b32 s17, 0x3c971480
	v_mul_lo_u32 v39, s8, v2
	s_lshl_b32 s8, s0, 2
	s_delay_alu instid0(VALU_DEP_3) | instskip(NEXT) | instid1(VALU_DEP_3)
	v_mov_b32_e32 v8, v3
	v_xor3_b32 v5, v7, v14, v33
	v_xor3_b32 v7, v4, v40, v34
	v_mov_b32_e32 v40, v13
	s_branch .LBB4_9
.LBB4_7:                                ;   in Loop: Header=BB4_9 Depth=1
	s_or_b32 exec_lo, exec_lo, s0
	s_delay_alu instid0(VALU_DEP_1) | instskip(NEXT) | instid1(VALU_DEP_1)
	v_dual_mul_f32 v8, v0, v0 :: v_dual_and_b32 v7, 1, v7
	v_fmaak_f32 v9, s17, v8, 0xbf039337
	v_fmaak_f32 v15, s15, v8, 0x3ec54587
	s_delay_alu instid0(VALU_DEP_3) | instskip(SKIP_1) | instid1(VALU_DEP_4)
	v_cmp_eq_u32_e32 vcc_lo, 0, v7
	v_add_nc_u32_e32 v7, s18, v39
	v_fmaak_f32 v9, v8, v9, 0x3f93f425
	s_delay_alu instid0(VALU_DEP_1) | instskip(SKIP_2) | instid1(VALU_DEP_1)
	v_rcp_f32_e32 v9, v9
	s_waitcnt_depctr 0xfff
	v_mul_f32_e32 v9, v15, v9
	v_mul_f32_e32 v8, v8, v9
	s_delay_alu instid0(VALU_DEP_1) | instskip(NEXT) | instid1(VALU_DEP_1)
	v_fma_f32 v9, v8, v0, v0
	v_rcp_f32_e32 v15, v9
	v_sub_f32_e32 v41, v9, v0
	s_delay_alu instid0(VALU_DEP_1) | instskip(SKIP_2) | instid1(VALU_DEP_1)
	v_fma_f32 v0, v8, v0, -v41
	s_waitcnt_depctr 0xfff
	v_fma_f32 v8, v9, -v15, 1.0
	v_fma_f32 v0, v0, -v15, v8
	s_delay_alu instid0(VALU_DEP_1) | instskip(NEXT) | instid1(VALU_DEP_1)
	v_fma_f32 v0, v0, -v15, -v15
	v_cndmask_b32_e32 v0, v0, v9, vcc_lo
	v_cmp_class_f32_e64 vcc_lo, v5, 0x1f8
	s_delay_alu instid0(VALU_DEP_2) | instskip(SKIP_1) | instid1(VALU_DEP_2)
	v_xor3_b32 v0, v6, v5, v0
	v_ashrrev_i32_e32 v6, 31, v7
	v_cndmask_b32_e32 v0, 0x7fc00000, v0, vcc_lo
	v_add_co_u32 v5, vcc_lo, s12, v7
	s_delay_alu instid0(VALU_DEP_3) | instskip(NEXT) | instid1(VALU_DEP_3)
	v_add_co_ci_u32_e32 v6, vcc_lo, s13, v6, vcc_lo
	v_fma_f32 v0, s10, v0, s9
	global_store_b32 v[5:6], v0, off
.LBB4_8:                                ;   in Loop: Header=BB4_9 Depth=1
	s_or_b32 exec_lo, exec_lo, s19
	v_add_co_u32 v12, vcc_lo, v12, s16
	v_add_co_ci_u32_e32 v13, vcc_lo, 0, v13, vcc_lo
	v_mov_b32_e32 v5, v14
	s_add_i32 s18, s18, s8
	s_waitcnt_vscnt null, 0x0
	s_delay_alu instid0(VALU_DEP_2)
	v_cmp_le_i64_e32 vcc_lo, s[6:7], v[12:13]
	s_barrier
	v_mov_b32_e32 v8, v5
	v_dual_mov_b32 v7, v4 :: v_dual_mov_b32 v6, v3
	v_mov_b32_e32 v5, v2
	s_or_b32 s3, vcc_lo, s3
	buffer_gl0_inv
	s_and_not1_b32 exec_lo, exec_lo, s3
	s_cbranch_execz .LBB4_30
.LBB4_9:                                ; =>This Inner Loop Header: Depth=1
	v_add_co_u32 v16, vcc_lo, v16, 1
	s_delay_alu instid0(VALU_DEP_1) | instskip(SKIP_1) | instid1(VALU_DEP_3)
	v_cndmask_b32_e64 v0, 0, 1, vcc_lo
	v_add_co_ci_u32_e32 v17, vcc_lo, 0, v17, vcc_lo
	v_mad_u64_u32 v[2:3], null, 0xd2511f53, v16, 0
	s_mov_b32 s0, exec_lo
	s_delay_alu instid0(VALU_DEP_2) | instskip(SKIP_1) | instid1(VALU_DEP_1)
	v_cmp_eq_u32_e32 vcc_lo, 0, v17
	v_cndmask_b32_e32 v0, 0, v0, vcc_lo
	v_add_nc_u32_e32 v37, v0, v37
	s_delay_alu instid0(VALU_DEP_1) | instskip(SKIP_2) | instid1(VALU_DEP_2)
	v_cmp_eq_u32_e32 vcc_lo, 0, v37
	v_cndmask_b32_e32 v0, 0, v0, vcc_lo
	v_mad_u64_u32 v[14:15], null, 0xcd9e8d57, v37, 0
	v_add_nc_u32_e32 v40, v0, v40
	v_xor_b32_e32 v0, v3, v11
	s_delay_alu instid0(VALU_DEP_3) | instskip(NEXT) | instid1(VALU_DEP_2)
	v_xor3_b32 v9, v15, v10, v17
	v_xor_b32_e32 v0, v40, v0
	s_delay_alu instid0(VALU_DEP_2) | instskip(NEXT) | instid1(VALU_DEP_2)
	v_mad_u64_u32 v[3:4], null, 0xd2511f53, v9, 0
	v_mad_u64_u32 v[41:42], null, 0xcd9e8d57, v0, 0
	s_delay_alu instid0(VALU_DEP_2) | instskip(NEXT) | instid1(VALU_DEP_2)
	v_xor3_b32 v0, v18, v4, v2
	v_xor3_b32 v2, v19, v42, v14
	s_delay_alu instid0(VALU_DEP_2) | instskip(NEXT) | instid1(VALU_DEP_2)
	v_mad_u64_u32 v[14:15], null, 0xcd9e8d57, v0, 0
	v_mad_u64_u32 v[42:43], null, 0xd2511f53, v2, 0
	s_delay_alu instid0(VALU_DEP_2) | instskip(NEXT) | instid1(VALU_DEP_2)
	v_xor3_b32 v0, v20, v15, v41
	v_xor3_b32 v4, v21, v43, v3
	;; [unrolled: 6-line block ×9, first 2 shown]
	s_delay_alu instid0(VALU_DEP_2)
	v_mov_b32_e32 v4, v9
	v_cmpx_lt_i32_e32 1, v32
	s_xor_b32 s0, exec_lo, s0
	s_cbranch_execnz .LBB4_12
; %bb.10:                               ;   in Loop: Header=BB4_9 Depth=1
	s_and_not1_saveexec_b32 s0, s0
	s_cbranch_execnz .LBB4_17
.LBB4_11:                               ;   in Loop: Header=BB4_9 Depth=1
	s_or_b32 exec_lo, exec_lo, s0
	s_delay_alu instid0(SALU_CYCLE_1)
	s_mov_b32 s19, exec_lo
	v_cmpx_gt_i64_e64 s[4:5], v[12:13]
	s_cbranch_execnz .LBB4_20
	s_branch .LBB4_25
.LBB4_12:                               ;   in Loop: Header=BB4_9 Depth=1
	s_mov_b32 s1, exec_lo
	v_cmpx_lt_i32_e32 2, v32
	s_xor_b32 s1, exec_lo, s1
; %bb.13:                               ;   in Loop: Header=BB4_9 Depth=1
	v_dual_mov_b32 v6, v8 :: v_dual_mov_b32 v7, v2
	v_mov_b32_e32 v8, v3
	s_delay_alu instid0(VALU_DEP_2) | instskip(NEXT) | instid1(VALU_DEP_3)
	v_mov_b32_e32 v5, v6
	v_mov_b32_e32 v6, v7
	s_delay_alu instid0(VALU_DEP_3)
	v_mov_b32_e32 v7, v8
	v_mov_b32_e32 v8, v9
; %bb.14:                               ;   in Loop: Header=BB4_9 Depth=1
	s_and_not1_saveexec_b32 s1, s1
; %bb.15:                               ;   in Loop: Header=BB4_9 Depth=1
	s_delay_alu instid0(VALU_DEP_1)
	v_dual_mov_b32 v5, v7 :: v_dual_mov_b32 v6, v8
	v_dual_mov_b32 v7, v2 :: v_dual_mov_b32 v8, v3
; %bb.16:                               ;   in Loop: Header=BB4_9 Depth=1
	s_or_b32 exec_lo, exec_lo, s1
	s_and_not1_saveexec_b32 s0, s0
	s_cbranch_execz .LBB4_11
.LBB4_17:                               ;   in Loop: Header=BB4_9 Depth=1
	s_mov_b32 s1, exec_lo
	v_cmpx_eq_u32_e32 1, v32
; %bb.18:                               ;   in Loop: Header=BB4_9 Depth=1
	v_dual_mov_b32 v5, v6 :: v_dual_mov_b32 v6, v7
	v_dual_mov_b32 v7, v8 :: v_dual_mov_b32 v8, v2
; %bb.19:                               ;   in Loop: Header=BB4_9 Depth=1
	s_or_b32 exec_lo, exec_lo, s1
	s_delay_alu instid0(SALU_CYCLE_1) | instskip(NEXT) | instid1(SALU_CYCLE_1)
	s_or_b32 exec_lo, exec_lo, s0
	s_mov_b32 s19, exec_lo
	v_cmpx_gt_i64_e64 s[4:5], v[12:13]
	s_cbranch_execz .LBB4_25
.LBB4_20:                               ;   in Loop: Header=BB4_9 Depth=1
	v_lshrrev_b32_e32 v0, 11, v6
	v_cvt_f64_u32_e32 v[5:6], v5
                                        ; implicit-def: $vgpr9
	s_mov_b32 s1, exec_lo
	s_delay_alu instid0(VALU_DEP_2) | instskip(NEXT) | instid1(VALU_DEP_1)
	v_cvt_f64_u32_e32 v[41:42], v0
	v_ldexp_f64 v[41:42], v[41:42], 32
	s_delay_alu instid0(VALU_DEP_1) | instskip(NEXT) | instid1(VALU_DEP_1)
	v_add_f64 v[5:6], v[41:42], v[5:6]
	v_fma_f64 v[5:6], 0x3ca00000, v[5:6], 0x3ca00000
	s_delay_alu instid0(VALU_DEP_1) | instskip(NEXT) | instid1(VALU_DEP_1)
	v_cvt_f32_f64_e32 v0, v[5:6]
	v_cmp_nlt_f32_e32 vcc_lo, 0x3f7ffffe, v0
	v_cndmask_b32_e32 v0, 0x3f7ffffe, v0, vcc_lo
	s_delay_alu instid0(VALU_DEP_1) | instskip(SKIP_1) | instid1(VALU_DEP_1)
	v_cmp_ngt_f32_e32 vcc_lo, 0x34000000, v0
	v_cndmask_b32_e32 v0, 0x34000000, v0, vcc_lo
	v_add_f32_e32 v0, -0.5, v0
	s_delay_alu instid0(VALU_DEP_1) | instskip(NEXT) | instid1(VALU_DEP_1)
	v_mul_f32_e32 v5, 0x40490fdb, v0
                                        ; implicit-def: $vgpr0
	v_and_b32_e32 v6, 0x7fffffff, v5
	v_cmpx_ngt_f32_e64 0x48000000, |v5|
	s_xor_b32 s20, exec_lo, s1
	s_cbranch_execz .LBB4_22
; %bb.21:                               ;   in Loop: Header=BB4_9 Depth=1
	s_delay_alu instid0(VALU_DEP_2) | instskip(SKIP_1) | instid1(VALU_DEP_2)
	v_and_or_b32 v9, v6, s11, 0x800000
	v_lshrrev_b32_e32 v15, 23, v6
	v_mad_u64_u32 v[41:42], null, 0xfe5163ab, v9, 0
	s_delay_alu instid0(VALU_DEP_2) | instskip(NEXT) | instid1(VALU_DEP_1)
	v_add_nc_u32_e32 v15, 0xffffff88, v15
	v_cmp_lt_u32_e32 vcc_lo, 63, v15
	s_delay_alu instid0(VALU_DEP_3) | instskip(SKIP_1) | instid1(VALU_DEP_2)
	v_mov_b32_e32 v0, v42
	v_cndmask_b32_e64 v47, 0, 0xffffffc0, vcc_lo
	v_mad_u64_u32 v[42:43], null, 0x3c439041, v9, v[0:1]
	s_delay_alu instid0(VALU_DEP_2) | instskip(NEXT) | instid1(VALU_DEP_1)
	v_add_nc_u32_e32 v15, v47, v15
	v_cmp_lt_u32_e64 s0, 31, v15
	s_delay_alu instid0(VALU_DEP_1) | instskip(NEXT) | instid1(VALU_DEP_1)
	v_cndmask_b32_e64 v48, 0, 0xffffffe0, s0
	v_dual_mov_b32 v0, v43 :: v_dual_add_nc_u32 v15, v48, v15
	s_delay_alu instid0(VALU_DEP_1) | instskip(NEXT) | instid1(VALU_DEP_2)
	v_mad_u64_u32 v[43:44], null, 0xdb629599, v9, v[0:1]
	v_cmp_lt_u32_e64 s1, 31, v15
	s_delay_alu instid0(VALU_DEP_2) | instskip(NEXT) | instid1(VALU_DEP_1)
	v_dual_mov_b32 v0, v44 :: v_dual_cndmask_b32 v41, v43, v41
	v_mad_u64_u32 v[44:45], null, 0xf534ddc0, v9, v[0:1]
	s_delay_alu instid0(VALU_DEP_1) | instskip(NEXT) | instid1(VALU_DEP_1)
	v_mov_b32_e32 v0, v45
	v_mad_u64_u32 v[45:46], null, 0xfc2757d1, v9, v[0:1]
	s_delay_alu instid0(VALU_DEP_1) | instskip(NEXT) | instid1(VALU_DEP_1)
	v_mov_b32_e32 v0, v46
	;; [unrolled: 3-line block ×3, first 2 shown]
	v_mad_u64_u32 v[47:48], null, 0xa2f9836e, v9, v[0:1]
	v_cndmask_b32_e64 v0, 0, 0xffffffe0, s1
	s_delay_alu instid0(VALU_DEP_1) | instskip(SKIP_1) | instid1(VALU_DEP_4)
	v_dual_cndmask_b32 v9, v46, v44 :: v_dual_add_nc_u32 v0, v0, v15
	v_cndmask_b32_e32 v15, v44, v42, vcc_lo
	v_dual_cndmask_b32 v47, v47, v45 :: v_dual_cndmask_b32 v46, v48, v46
	v_cndmask_b32_e32 v45, v45, v43, vcc_lo
	s_delay_alu instid0(VALU_DEP_4) | instskip(NEXT) | instid1(VALU_DEP_3)
	v_cmp_eq_u32_e64 s2, 0, v0
	v_cndmask_b32_e64 v42, v47, v9, s0
	s_delay_alu instid0(VALU_DEP_4) | instskip(NEXT) | instid1(VALU_DEP_4)
	v_cndmask_b32_e64 v44, v46, v47, s0
	v_cndmask_b32_e64 v9, v9, v45, s0
	v_sub_nc_u32_e32 v46, 32, v0
	v_cndmask_b32_e64 v45, v45, v15, s0
	v_cndmask_b32_e64 v15, v15, v41, s0
	;; [unrolled: 1-line block ×4, first 2 shown]
	s_delay_alu instid0(VALU_DEP_4) | instskip(NEXT) | instid1(VALU_DEP_4)
	v_cndmask_b32_e64 v9, v9, v45, s1
	v_cndmask_b32_e64 v15, v45, v15, s1
	s_delay_alu instid0(VALU_DEP_3) | instskip(NEXT) | instid1(VALU_DEP_3)
	v_alignbit_b32 v47, v44, v42, v46
	v_alignbit_b32 v48, v42, v9, v46
	s_delay_alu instid0(VALU_DEP_3) | instskip(NEXT) | instid1(VALU_DEP_3)
	v_alignbit_b32 v46, v9, v15, v46
	v_cndmask_b32_e64 v0, v47, v44, s2
	s_delay_alu instid0(VALU_DEP_3) | instskip(NEXT) | instid1(VALU_DEP_3)
	v_cndmask_b32_e64 v42, v48, v42, s2
	v_cndmask_b32_e64 v9, v46, v9, s2
	s_delay_alu instid0(VALU_DEP_3) | instskip(NEXT) | instid1(VALU_DEP_3)
	v_bfe_u32 v43, v0, 29, 1
	v_alignbit_b32 v41, v0, v42, 30
	s_delay_alu instid0(VALU_DEP_3) | instskip(SKIP_1) | instid1(VALU_DEP_4)
	v_alignbit_b32 v42, v42, v9, 30
	v_alignbit_b32 v9, v9, v15, 30
	v_sub_nc_u32_e32 v44, 0, v43
	s_delay_alu instid0(VALU_DEP_1) | instskip(SKIP_3) | instid1(VALU_DEP_4)
	v_xor_b32_e32 v45, v41, v44
	v_cmp_ne_u32_e32 vcc_lo, v41, v44
	v_xor_b32_e32 v15, v42, v44
	v_xor_b32_e32 v9, v9, v44
	v_clz_i32_u32_e32 v47, v45
	s_delay_alu instid0(VALU_DEP_1) | instskip(NEXT) | instid1(VALU_DEP_1)
	v_add_nc_u32_e32 v46, 1, v47
	v_cndmask_b32_e32 v41, 33, v46, vcc_lo
	s_delay_alu instid0(VALU_DEP_1) | instskip(NEXT) | instid1(VALU_DEP_1)
	v_sub_nc_u32_e32 v42, 32, v41
	v_alignbit_b32 v44, v45, v15, v42
	v_alignbit_b32 v9, v15, v9, v42
	v_lshrrev_b32_e32 v15, 29, v0
	s_delay_alu instid0(VALU_DEP_2) | instskip(NEXT) | instid1(VALU_DEP_2)
	v_alignbit_b32 v42, v44, v9, 9
	v_lshlrev_b32_e32 v15, 31, v15
	v_alignbit_b32 v44, v41, v44, 9
	s_delay_alu instid0(VALU_DEP_3) | instskip(NEXT) | instid1(VALU_DEP_2)
	v_clz_i32_u32_e32 v45, v42
	v_or_b32_e32 v44, v44, v15
	v_or_b32_e32 v15, 0x33800000, v15
	s_delay_alu instid0(VALU_DEP_3) | instskip(NEXT) | instid1(VALU_DEP_3)
	v_min_u32_e32 v45, 32, v45
	v_xor_b32_e32 v44, 1.0, v44
	s_delay_alu instid0(VALU_DEP_2) | instskip(SKIP_1) | instid1(VALU_DEP_3)
	v_sub_nc_u32_e32 v46, 31, v45
	v_add_lshl_u32 v41, v45, v41, 23
	v_mul_f32_e32 v45, 0x3fc90fda, v44
	s_delay_alu instid0(VALU_DEP_3) | instskip(NEXT) | instid1(VALU_DEP_3)
	v_alignbit_b32 v9, v42, v9, v46
	v_sub_nc_u32_e32 v15, v15, v41
	s_delay_alu instid0(VALU_DEP_3) | instskip(NEXT) | instid1(VALU_DEP_3)
	v_fma_f32 v41, 0x3fc90fda, v44, -v45
	v_lshrrev_b32_e32 v9, 9, v9
	s_delay_alu instid0(VALU_DEP_2) | instskip(NEXT) | instid1(VALU_DEP_2)
	v_fmac_f32_e32 v41, 0x33a22168, v44
	v_or_b32_e32 v9, v15, v9
	s_delay_alu instid0(VALU_DEP_1) | instskip(SKIP_1) | instid1(VALU_DEP_2)
	v_fmac_f32_e32 v41, 0x3fc90fda, v9
	v_lshrrev_b32_e32 v9, 30, v0
	v_add_f32_e32 v0, v45, v41
	s_delay_alu instid0(VALU_DEP_2)
	v_add_nc_u32_e32 v9, v43, v9
.LBB4_22:                               ;   in Loop: Header=BB4_9 Depth=1
	s_and_not1_saveexec_b32 s0, s20
; %bb.23:                               ;   in Loop: Header=BB4_9 Depth=1
	v_mul_f32_e64 v0, 0x3f22f983, |v5|
	s_delay_alu instid0(VALU_DEP_1) | instskip(NEXT) | instid1(VALU_DEP_1)
	v_rndne_f32_e32 v9, v0
	v_fma_f32 v0, 0xbfc90fda, v9, |v5|
	s_delay_alu instid0(VALU_DEP_1) | instskip(NEXT) | instid1(VALU_DEP_1)
	v_fmac_f32_e32 v0, 0xb3a22168, v9
	v_fmac_f32_e32 v0, 0xa7c234c4, v9
	v_cvt_i32_f32_e32 v9, v9
; %bb.24:                               ;   in Loop: Header=BB4_9 Depth=1
	s_or_b32 exec_lo, exec_lo, s0
	s_delay_alu instid0(VALU_DEP_2) | instskip(NEXT) | instid1(VALU_DEP_2)
	v_mul_f32_e32 v15, v0, v0
	v_and_b32_e32 v9, 1, v9
	s_delay_alu instid0(VALU_DEP_2) | instskip(SKIP_1) | instid1(VALU_DEP_3)
	v_fmaak_f32 v41, s17, v15, 0xbf039337
	v_fmaak_f32 v42, s15, v15, 0x3ec54587
	v_cmp_eq_u32_e32 vcc_lo, 0, v9
	v_add_nc_u32_e32 v9, s18, v38
	s_delay_alu instid0(VALU_DEP_4) | instskip(NEXT) | instid1(VALU_DEP_1)
	v_fmaak_f32 v41, v15, v41, 0x3f93f425
	v_rcp_f32_e32 v41, v41
	s_waitcnt_depctr 0xfff
	v_mul_f32_e32 v41, v42, v41
	s_delay_alu instid0(VALU_DEP_1) | instskip(NEXT) | instid1(VALU_DEP_1)
	v_mul_f32_e32 v15, v15, v41
	v_fma_f32 v41, v15, v0, v0
	s_delay_alu instid0(VALU_DEP_1) | instskip(SKIP_1) | instid1(VALU_DEP_1)
	v_rcp_f32_e32 v42, v41
	v_sub_f32_e32 v43, v41, v0
	v_fma_f32 v0, v15, v0, -v43
	s_waitcnt_depctr 0xfff
	v_fma_f32 v15, v41, -v42, 1.0
	s_delay_alu instid0(VALU_DEP_1) | instskip(NEXT) | instid1(VALU_DEP_1)
	v_fma_f32 v0, v0, -v42, v15
	v_fma_f32 v0, v0, -v42, -v42
	s_delay_alu instid0(VALU_DEP_1) | instskip(SKIP_1) | instid1(VALU_DEP_2)
	v_cndmask_b32_e32 v0, v0, v41, vcc_lo
	v_cmp_class_f32_e64 vcc_lo, v5, 0x1f8
	v_xor3_b32 v0, v6, v5, v0
	v_ashrrev_i32_e32 v6, 31, v9
	s_delay_alu instid0(VALU_DEP_2) | instskip(SKIP_1) | instid1(VALU_DEP_3)
	v_cndmask_b32_e32 v0, 0x7fc00000, v0, vcc_lo
	v_add_co_u32 v5, vcc_lo, s12, v9
	v_add_co_ci_u32_e32 v6, vcc_lo, s13, v6, vcc_lo
	s_delay_alu instid0(VALU_DEP_3)
	v_fma_f32 v0, s10, v0, s9
	global_store_b32 v[5:6], v0, off
.LBB4_25:                               ;   in Loop: Header=BB4_9 Depth=1
	s_or_b32 exec_lo, exec_lo, s19
	v_add_co_u32 v5, vcc_lo, s14, v12
	v_add_co_ci_u32_e32 v6, vcc_lo, 0, v13, vcc_lo
	s_mov_b32 s19, exec_lo
	s_delay_alu instid0(VALU_DEP_1)
	v_cmpx_gt_i64_e64 s[4:5], v[5:6]
	s_cbranch_execz .LBB4_8
; %bb.26:                               ;   in Loop: Header=BB4_9 Depth=1
	v_lshrrev_b32_e32 v0, 11, v8
	v_cvt_f64_u32_e32 v[7:8], v7
	s_mov_b32 s1, exec_lo
	s_delay_alu instid0(VALU_DEP_2) | instskip(NEXT) | instid1(VALU_DEP_1)
	v_cvt_f64_u32_e32 v[5:6], v0
	v_ldexp_f64 v[5:6], v[5:6], 32
	s_delay_alu instid0(VALU_DEP_1) | instskip(NEXT) | instid1(VALU_DEP_1)
	v_add_f64 v[5:6], v[5:6], v[7:8]
                                        ; implicit-def: $vgpr7
	v_fma_f64 v[5:6], 0x3ca00000, v[5:6], 0x3ca00000
	s_delay_alu instid0(VALU_DEP_1) | instskip(NEXT) | instid1(VALU_DEP_1)
	v_cvt_f32_f64_e32 v0, v[5:6]
	v_cmp_nlt_f32_e32 vcc_lo, 0x3f7ffffe, v0
	v_cndmask_b32_e32 v0, 0x3f7ffffe, v0, vcc_lo
	s_delay_alu instid0(VALU_DEP_1) | instskip(SKIP_1) | instid1(VALU_DEP_1)
	v_cmp_ngt_f32_e32 vcc_lo, 0x34000000, v0
	v_cndmask_b32_e32 v0, 0x34000000, v0, vcc_lo
	v_add_f32_e32 v0, -0.5, v0
	s_delay_alu instid0(VALU_DEP_1) | instskip(NEXT) | instid1(VALU_DEP_1)
	v_mul_f32_e32 v5, 0x40490fdb, v0
                                        ; implicit-def: $vgpr0
	v_and_b32_e32 v6, 0x7fffffff, v5
	v_cmpx_ngt_f32_e64 0x48000000, |v5|
	s_xor_b32 s20, exec_lo, s1
	s_cbranch_execz .LBB4_28
; %bb.27:                               ;   in Loop: Header=BB4_9 Depth=1
	s_delay_alu instid0(VALU_DEP_2) | instskip(NEXT) | instid1(VALU_DEP_1)
	v_and_or_b32 v15, v6, s11, 0x800000
	v_mad_u64_u32 v[7:8], null, 0xfe5163ab, v15, 0
	s_delay_alu instid0(VALU_DEP_1) | instskip(NEXT) | instid1(VALU_DEP_1)
	v_mov_b32_e32 v0, v8
	v_mad_u64_u32 v[8:9], null, 0x3c439041, v15, v[0:1]
	s_delay_alu instid0(VALU_DEP_1) | instskip(SKIP_1) | instid1(VALU_DEP_1)
	v_mov_b32_e32 v0, v9
	v_lshrrev_b32_e32 v9, 23, v6
	v_add_nc_u32_e32 v9, 0xffffff88, v9
	s_delay_alu instid0(VALU_DEP_1) | instskip(SKIP_1) | instid1(VALU_DEP_1)
	v_cmp_lt_u32_e32 vcc_lo, 63, v9
	v_cndmask_b32_e64 v45, 0, 0xffffffc0, vcc_lo
	v_add_nc_u32_e32 v9, v45, v9
	s_delay_alu instid0(VALU_DEP_1) | instskip(NEXT) | instid1(VALU_DEP_1)
	v_cmp_lt_u32_e64 s0, 31, v9
	v_cndmask_b32_e64 v46, 0, 0xffffffe0, s0
	s_delay_alu instid0(VALU_DEP_1) | instskip(SKIP_1) | instid1(VALU_DEP_2)
	v_add_nc_u32_e32 v9, v46, v9
	v_mad_u64_u32 v[41:42], null, 0xdb629599, v15, v[0:1]
	v_cmp_lt_u32_e64 s1, 31, v9
	s_delay_alu instid0(VALU_DEP_2) | instskip(NEXT) | instid1(VALU_DEP_1)
	v_dual_mov_b32 v0, v42 :: v_dual_cndmask_b32 v7, v41, v7
	v_mad_u64_u32 v[42:43], null, 0xf534ddc0, v15, v[0:1]
	s_delay_alu instid0(VALU_DEP_1) | instskip(NEXT) | instid1(VALU_DEP_2)
	v_mov_b32_e32 v0, v43
	v_cndmask_b32_e32 v8, v42, v8, vcc_lo
	s_delay_alu instid0(VALU_DEP_2) | instskip(NEXT) | instid1(VALU_DEP_2)
	v_mad_u64_u32 v[43:44], null, 0xfc2757d1, v15, v[0:1]
	v_cndmask_b32_e64 v7, v8, v7, s0
	s_delay_alu instid0(VALU_DEP_2) | instskip(NEXT) | instid1(VALU_DEP_1)
	v_mov_b32_e32 v0, v44
	v_mad_u64_u32 v[44:45], null, 0x4e441529, v15, v[0:1]
	s_delay_alu instid0(VALU_DEP_1) | instskip(NEXT) | instid1(VALU_DEP_1)
	v_mov_b32_e32 v0, v45
	v_mad_u64_u32 v[45:46], null, 0xa2f9836e, v15, v[0:1]
	v_cndmask_b32_e64 v0, 0, 0xffffffe0, s1
	s_delay_alu instid0(VALU_DEP_4) | instskip(NEXT) | instid1(VALU_DEP_2)
	v_cndmask_b32_e32 v15, v44, v42, vcc_lo
	v_dual_cndmask_b32 v45, v45, v43 :: v_dual_add_nc_u32 v0, v0, v9
	s_delay_alu instid0(VALU_DEP_4) | instskip(NEXT) | instid1(VALU_DEP_2)
	v_dual_cndmask_b32 v44, v46, v44 :: v_dual_cndmask_b32 v43, v43, v41
	v_cmp_eq_u32_e64 s2, 0, v0
	s_delay_alu instid0(VALU_DEP_3) | instskip(NEXT) | instid1(VALU_DEP_3)
	v_cndmask_b32_e64 v9, v45, v15, s0
	v_cndmask_b32_e64 v42, v44, v45, s0
	s_delay_alu instid0(VALU_DEP_4) | instskip(SKIP_2) | instid1(VALU_DEP_4)
	v_cndmask_b32_e64 v15, v15, v43, s0
	v_sub_nc_u32_e32 v44, 32, v0
	v_cndmask_b32_e64 v43, v43, v8, s0
	v_cndmask_b32_e64 v42, v42, v9, s1
	s_delay_alu instid0(VALU_DEP_4) | instskip(NEXT) | instid1(VALU_DEP_3)
	v_cndmask_b32_e64 v9, v9, v15, s1
	v_cndmask_b32_e64 v15, v15, v43, s1
	;; [unrolled: 1-line block ×3, first 2 shown]
	s_delay_alu instid0(VALU_DEP_3) | instskip(NEXT) | instid1(VALU_DEP_3)
	v_alignbit_b32 v45, v42, v9, v44
	v_alignbit_b32 v46, v9, v15, v44
	s_delay_alu instid0(VALU_DEP_3) | instskip(NEXT) | instid1(VALU_DEP_3)
	v_alignbit_b32 v44, v15, v7, v44
	v_cndmask_b32_e64 v0, v45, v42, s2
	s_delay_alu instid0(VALU_DEP_3) | instskip(NEXT) | instid1(VALU_DEP_3)
	v_cndmask_b32_e64 v9, v46, v9, s2
	v_cndmask_b32_e64 v15, v44, v15, s2
	s_delay_alu instid0(VALU_DEP_3) | instskip(NEXT) | instid1(VALU_DEP_3)
	v_bfe_u32 v41, v0, 29, 1
	v_alignbit_b32 v8, v0, v9, 30
	s_delay_alu instid0(VALU_DEP_3) | instskip(SKIP_1) | instid1(VALU_DEP_4)
	v_alignbit_b32 v9, v9, v15, 30
	v_alignbit_b32 v7, v15, v7, 30
	v_sub_nc_u32_e32 v42, 0, v41
	s_delay_alu instid0(VALU_DEP_1) | instskip(SKIP_3) | instid1(VALU_DEP_4)
	v_xor_b32_e32 v43, v8, v42
	v_cmp_ne_u32_e32 vcc_lo, v8, v42
	v_xor_b32_e32 v9, v9, v42
	v_xor_b32_e32 v7, v7, v42
	v_clz_i32_u32_e32 v45, v43
	s_delay_alu instid0(VALU_DEP_1) | instskip(NEXT) | instid1(VALU_DEP_1)
	v_add_nc_u32_e32 v44, 1, v45
	v_cndmask_b32_e32 v8, 33, v44, vcc_lo
	s_delay_alu instid0(VALU_DEP_1) | instskip(NEXT) | instid1(VALU_DEP_1)
	v_sub_nc_u32_e32 v15, 32, v8
	v_alignbit_b32 v42, v43, v9, v15
	v_alignbit_b32 v7, v9, v7, v15
	v_lshrrev_b32_e32 v9, 29, v0
	s_delay_alu instid0(VALU_DEP_2) | instskip(NEXT) | instid1(VALU_DEP_2)
	v_alignbit_b32 v15, v42, v7, 9
	v_lshlrev_b32_e32 v9, 31, v9
	v_alignbit_b32 v42, v8, v42, 9
	s_delay_alu instid0(VALU_DEP_3) | instskip(NEXT) | instid1(VALU_DEP_2)
	v_clz_i32_u32_e32 v43, v15
	v_or_b32_e32 v42, v42, v9
	v_or_b32_e32 v9, 0x33800000, v9
	s_delay_alu instid0(VALU_DEP_3) | instskip(NEXT) | instid1(VALU_DEP_3)
	v_min_u32_e32 v43, 32, v43
	v_xor_b32_e32 v42, 1.0, v42
	s_delay_alu instid0(VALU_DEP_2) | instskip(SKIP_1) | instid1(VALU_DEP_3)
	v_sub_nc_u32_e32 v44, 31, v43
	v_add_lshl_u32 v8, v43, v8, 23
	v_mul_f32_e32 v43, 0x3fc90fda, v42
	s_delay_alu instid0(VALU_DEP_3) | instskip(NEXT) | instid1(VALU_DEP_3)
	v_alignbit_b32 v7, v15, v7, v44
	v_sub_nc_u32_e32 v8, v9, v8
	s_delay_alu instid0(VALU_DEP_3) | instskip(NEXT) | instid1(VALU_DEP_3)
	v_fma_f32 v9, 0x3fc90fda, v42, -v43
	v_lshrrev_b32_e32 v7, 9, v7
	s_delay_alu instid0(VALU_DEP_2) | instskip(NEXT) | instid1(VALU_DEP_2)
	v_fmac_f32_e32 v9, 0x33a22168, v42
	v_or_b32_e32 v7, v8, v7
	s_delay_alu instid0(VALU_DEP_1) | instskip(SKIP_1) | instid1(VALU_DEP_1)
	v_fmac_f32_e32 v9, 0x3fc90fda, v7
	v_lshrrev_b32_e32 v7, 30, v0
	v_dual_add_f32 v0, v43, v9 :: v_dual_add_nc_u32 v7, v41, v7
.LBB4_28:                               ;   in Loop: Header=BB4_9 Depth=1
	s_and_not1_saveexec_b32 s0, s20
	s_cbranch_execz .LBB4_7
; %bb.29:                               ;   in Loop: Header=BB4_9 Depth=1
	v_mul_f32_e64 v0, 0x3f22f983, |v5|
	s_delay_alu instid0(VALU_DEP_1) | instskip(NEXT) | instid1(VALU_DEP_1)
	v_rndne_f32_e32 v7, v0
	v_fma_f32 v0, 0xbfc90fda, v7, |v5|
	s_delay_alu instid0(VALU_DEP_1) | instskip(NEXT) | instid1(VALU_DEP_1)
	v_fmac_f32_e32 v0, 0xb3a22168, v7
	v_fmac_f32_e32 v0, 0xa7c234c4, v7
	v_cvt_i32_f32_e32 v7, v7
	s_branch .LBB4_7
.LBB4_30:
	s_endpgm
.LBB4_31:
                                        ; implicit-def: $sgpr2_sgpr3
	s_branch .LBB4_4
	.section	.rodata,"a",@progbits
	.p2align	6, 0x0
	.amdhsa_kernel _ZN2at6native12_GLOBAL__N_143distribution_elementwise_grid_stride_kernelIfLi4EZNS0_9templates4cuda21uniform_and_transformIffPNS_17CUDAGeneratorImplEZZZNS4_13cauchy_kernelIS7_EEvRNS_18TensorIteratorBaseEddT_ENKUlvE_clEvENKUlvE0_clEvEUlfE_EEvSA_T1_T2_EUlP25hiprandStatePhilox4_32_10E_ZNS1_27distribution_nullary_kernelIff15HIP_vector_typeIdLj2EES7_SJ_SE_EEvSA_SG_RKT3_T4_EUlifE_EEvlNS_15PhiloxCudaStateESF_SG_
		.amdhsa_group_segment_fixed_size 0
		.amdhsa_private_segment_fixed_size 0
		.amdhsa_kernarg_size 328
		.amdhsa_user_sgpr_count 15
		.amdhsa_user_sgpr_dispatch_ptr 0
		.amdhsa_user_sgpr_queue_ptr 0
		.amdhsa_user_sgpr_kernarg_segment_ptr 1
		.amdhsa_user_sgpr_dispatch_id 0
		.amdhsa_user_sgpr_private_segment_size 0
		.amdhsa_wavefront_size32 1
		.amdhsa_uses_dynamic_stack 0
		.amdhsa_enable_private_segment 0
		.amdhsa_system_sgpr_workgroup_id_x 1
		.amdhsa_system_sgpr_workgroup_id_y 0
		.amdhsa_system_sgpr_workgroup_id_z 0
		.amdhsa_system_sgpr_workgroup_info 0
		.amdhsa_system_vgpr_workitem_id 0
		.amdhsa_next_free_vgpr 49
		.amdhsa_next_free_sgpr 23
		.amdhsa_reserve_vcc 1
		.amdhsa_float_round_mode_32 0
		.amdhsa_float_round_mode_16_64 0
		.amdhsa_float_denorm_mode_32 3
		.amdhsa_float_denorm_mode_16_64 3
		.amdhsa_dx10_clamp 1
		.amdhsa_ieee_mode 1
		.amdhsa_fp16_overflow 0
		.amdhsa_workgroup_processor_mode 1
		.amdhsa_memory_ordered 1
		.amdhsa_forward_progress 0
		.amdhsa_shared_vgpr_count 0
		.amdhsa_exception_fp_ieee_invalid_op 0
		.amdhsa_exception_fp_denorm_src 0
		.amdhsa_exception_fp_ieee_div_zero 0
		.amdhsa_exception_fp_ieee_overflow 0
		.amdhsa_exception_fp_ieee_underflow 0
		.amdhsa_exception_fp_ieee_inexact 0
		.amdhsa_exception_int_div_zero 0
	.end_amdhsa_kernel
	.section	.text._ZN2at6native12_GLOBAL__N_143distribution_elementwise_grid_stride_kernelIfLi4EZNS0_9templates4cuda21uniform_and_transformIffPNS_17CUDAGeneratorImplEZZZNS4_13cauchy_kernelIS7_EEvRNS_18TensorIteratorBaseEddT_ENKUlvE_clEvENKUlvE0_clEvEUlfE_EEvSA_T1_T2_EUlP25hiprandStatePhilox4_32_10E_ZNS1_27distribution_nullary_kernelIff15HIP_vector_typeIdLj2EES7_SJ_SE_EEvSA_SG_RKT3_T4_EUlifE_EEvlNS_15PhiloxCudaStateESF_SG_,"axG",@progbits,_ZN2at6native12_GLOBAL__N_143distribution_elementwise_grid_stride_kernelIfLi4EZNS0_9templates4cuda21uniform_and_transformIffPNS_17CUDAGeneratorImplEZZZNS4_13cauchy_kernelIS7_EEvRNS_18TensorIteratorBaseEddT_ENKUlvE_clEvENKUlvE0_clEvEUlfE_EEvSA_T1_T2_EUlP25hiprandStatePhilox4_32_10E_ZNS1_27distribution_nullary_kernelIff15HIP_vector_typeIdLj2EES7_SJ_SE_EEvSA_SG_RKT3_T4_EUlifE_EEvlNS_15PhiloxCudaStateESF_SG_,comdat
.Lfunc_end4:
	.size	_ZN2at6native12_GLOBAL__N_143distribution_elementwise_grid_stride_kernelIfLi4EZNS0_9templates4cuda21uniform_and_transformIffPNS_17CUDAGeneratorImplEZZZNS4_13cauchy_kernelIS7_EEvRNS_18TensorIteratorBaseEddT_ENKUlvE_clEvENKUlvE0_clEvEUlfE_EEvSA_T1_T2_EUlP25hiprandStatePhilox4_32_10E_ZNS1_27distribution_nullary_kernelIff15HIP_vector_typeIdLj2EES7_SJ_SE_EEvSA_SG_RKT3_T4_EUlifE_EEvlNS_15PhiloxCudaStateESF_SG_, .Lfunc_end4-_ZN2at6native12_GLOBAL__N_143distribution_elementwise_grid_stride_kernelIfLi4EZNS0_9templates4cuda21uniform_and_transformIffPNS_17CUDAGeneratorImplEZZZNS4_13cauchy_kernelIS7_EEvRNS_18TensorIteratorBaseEddT_ENKUlvE_clEvENKUlvE0_clEvEUlfE_EEvSA_T1_T2_EUlP25hiprandStatePhilox4_32_10E_ZNS1_27distribution_nullary_kernelIff15HIP_vector_typeIdLj2EES7_SJ_SE_EEvSA_SG_RKT3_T4_EUlifE_EEvlNS_15PhiloxCudaStateESF_SG_
                                        ; -- End function
	.section	.AMDGPU.csdata,"",@progbits
; Kernel info:
; codeLenInByte = 4796
; NumSgprs: 25
; NumVgprs: 49
; ScratchSize: 0
; MemoryBound: 0
; FloatMode: 240
; IeeeMode: 1
; LDSByteSize: 0 bytes/workgroup (compile time only)
; SGPRBlocks: 3
; VGPRBlocks: 6
; NumSGPRsForWavesPerEU: 25
; NumVGPRsForWavesPerEU: 49
; Occupancy: 16
; WaveLimiterHint : 0
; COMPUTE_PGM_RSRC2:SCRATCH_EN: 0
; COMPUTE_PGM_RSRC2:USER_SGPR: 15
; COMPUTE_PGM_RSRC2:TRAP_HANDLER: 0
; COMPUTE_PGM_RSRC2:TGID_X_EN: 1
; COMPUTE_PGM_RSRC2:TGID_Y_EN: 0
; COMPUTE_PGM_RSRC2:TGID_Z_EN: 0
; COMPUTE_PGM_RSRC2:TIDIG_COMP_CNT: 0
	.section	.text._ZN2at6native12_GLOBAL__N_143distribution_elementwise_grid_stride_kernelIfLi4EZNS0_9templates4cuda21uniform_and_transformIffPNS_17CUDAGeneratorImplEZZZNS4_13cauchy_kernelIS7_EEvRNS_18TensorIteratorBaseEddT_ENKUlvE_clEvENKUlvE0_clEvEUlfE_EEvSA_T1_T2_EUlP25hiprandStatePhilox4_32_10E_ZNS1_27distribution_nullary_kernelIff15HIP_vector_typeIdLj2EES7_SJ_SE_EEvSA_SG_RKT3_T4_EUlifE0_EEvlNS_15PhiloxCudaStateESF_SG_,"axG",@progbits,_ZN2at6native12_GLOBAL__N_143distribution_elementwise_grid_stride_kernelIfLi4EZNS0_9templates4cuda21uniform_and_transformIffPNS_17CUDAGeneratorImplEZZZNS4_13cauchy_kernelIS7_EEvRNS_18TensorIteratorBaseEddT_ENKUlvE_clEvENKUlvE0_clEvEUlfE_EEvSA_T1_T2_EUlP25hiprandStatePhilox4_32_10E_ZNS1_27distribution_nullary_kernelIff15HIP_vector_typeIdLj2EES7_SJ_SE_EEvSA_SG_RKT3_T4_EUlifE0_EEvlNS_15PhiloxCudaStateESF_SG_,comdat
	.globl	_ZN2at6native12_GLOBAL__N_143distribution_elementwise_grid_stride_kernelIfLi4EZNS0_9templates4cuda21uniform_and_transformIffPNS_17CUDAGeneratorImplEZZZNS4_13cauchy_kernelIS7_EEvRNS_18TensorIteratorBaseEddT_ENKUlvE_clEvENKUlvE0_clEvEUlfE_EEvSA_T1_T2_EUlP25hiprandStatePhilox4_32_10E_ZNS1_27distribution_nullary_kernelIff15HIP_vector_typeIdLj2EES7_SJ_SE_EEvSA_SG_RKT3_T4_EUlifE0_EEvlNS_15PhiloxCudaStateESF_SG_ ; -- Begin function _ZN2at6native12_GLOBAL__N_143distribution_elementwise_grid_stride_kernelIfLi4EZNS0_9templates4cuda21uniform_and_transformIffPNS_17CUDAGeneratorImplEZZZNS4_13cauchy_kernelIS7_EEvRNS_18TensorIteratorBaseEddT_ENKUlvE_clEvENKUlvE0_clEvEUlfE_EEvSA_T1_T2_EUlP25hiprandStatePhilox4_32_10E_ZNS1_27distribution_nullary_kernelIff15HIP_vector_typeIdLj2EES7_SJ_SE_EEvSA_SG_RKT3_T4_EUlifE0_EEvlNS_15PhiloxCudaStateESF_SG_
	.p2align	8
	.type	_ZN2at6native12_GLOBAL__N_143distribution_elementwise_grid_stride_kernelIfLi4EZNS0_9templates4cuda21uniform_and_transformIffPNS_17CUDAGeneratorImplEZZZNS4_13cauchy_kernelIS7_EEvRNS_18TensorIteratorBaseEddT_ENKUlvE_clEvENKUlvE0_clEvEUlfE_EEvSA_T1_T2_EUlP25hiprandStatePhilox4_32_10E_ZNS1_27distribution_nullary_kernelIff15HIP_vector_typeIdLj2EES7_SJ_SE_EEvSA_SG_RKT3_T4_EUlifE0_EEvlNS_15PhiloxCudaStateESF_SG_,@function
_ZN2at6native12_GLOBAL__N_143distribution_elementwise_grid_stride_kernelIfLi4EZNS0_9templates4cuda21uniform_and_transformIffPNS_17CUDAGeneratorImplEZZZNS4_13cauchy_kernelIS7_EEvRNS_18TensorIteratorBaseEddT_ENKUlvE_clEvENKUlvE0_clEvEUlfE_EEvSA_T1_T2_EUlP25hiprandStatePhilox4_32_10E_ZNS1_27distribution_nullary_kernelIff15HIP_vector_typeIdLj2EES7_SJ_SE_EEvSA_SG_RKT3_T4_EUlifE0_EEvlNS_15PhiloxCudaStateESF_SG_: ; @_ZN2at6native12_GLOBAL__N_143distribution_elementwise_grid_stride_kernelIfLi4EZNS0_9templates4cuda21uniform_and_transformIffPNS_17CUDAGeneratorImplEZZZNS4_13cauchy_kernelIS7_EEvRNS_18TensorIteratorBaseEddT_ENKUlvE_clEvENKUlvE0_clEvEUlfE_EEvSA_T1_T2_EUlP25hiprandStatePhilox4_32_10E_ZNS1_27distribution_nullary_kernelIff15HIP_vector_typeIdLj2EES7_SJ_SE_EEvSA_SG_RKT3_T4_EUlifE0_EEvlNS_15PhiloxCudaStateESF_SG_
; %bb.0:
	s_clause 0x2
	s_load_b64 s[4:5], s[0:1], 0x10
	s_load_b128 s[16:19], s[0:1], 0x0
	s_load_b32 s2, s[0:1], 0x20
	s_waitcnt lgkmcnt(0)
	v_dual_mov_b32 v2, s4 :: v_dual_mov_b32 v3, s5
	v_dual_mov_b32 v10, s18 :: v_dual_mov_b32 v11, s19
	s_bitcmp0_b32 s2, 0
	s_mov_b32 s2, 0
	s_cbranch_scc1 .LBB5_2
; %bb.1:
	v_dual_mov_b32 v1, s4 :: v_dual_mov_b32 v2, s5
	v_dual_mov_b32 v4, s18 :: v_dual_mov_b32 v5, s19
	s_load_b64 s[4:5], s[0:1], 0x18
	flat_load_b64 v[2:3], v[1:2]
	flat_load_b64 v[10:11], v[4:5]
	s_waitcnt vmcnt(1) lgkmcnt(0)
	v_add_co_u32 v2, vcc_lo, v2, s4
	v_add_co_ci_u32_e32 v3, vcc_lo, s5, v3, vcc_lo
.LBB5_2:
	s_clause 0x1
	s_load_b32 s3, s[0:1], 0x154
	s_load_b32 s4, s[0:1], 0x148
	s_waitcnt lgkmcnt(0)
	s_and_b32 s5, s3, 0xffff
	s_add_u32 s6, s16, -1
	s_mul_i32 s26, s4, s5
	s_addc_u32 s3, s17, -1
	s_lshl_b32 s27, s26, 2
	s_cmp_lg_u64 s[2:3], 0
	s_cbranch_scc0 .LBB5_57
; %bb.3:
	v_cvt_f32_ubyte0_e32 v1, 0
	v_cvt_f32_u32_e32 v4, s27
	s_sub_u32 s8, 0, s27
	s_subb_u32 s9, 0, 0
	s_delay_alu instid0(VALU_DEP_1) | instskip(NEXT) | instid1(VALU_DEP_1)
	v_fmamk_f32 v1, v1, 0x4f800000, v4
	v_rcp_f32_e32 v1, v1
	s_waitcnt_depctr 0xfff
	v_mul_f32_e32 v1, 0x5f7ffffc, v1
	s_delay_alu instid0(VALU_DEP_1) | instskip(NEXT) | instid1(VALU_DEP_1)
	v_mul_f32_e32 v4, 0x2f800000, v1
	v_trunc_f32_e32 v4, v4
	s_delay_alu instid0(VALU_DEP_1) | instskip(SKIP_1) | instid1(VALU_DEP_2)
	v_fmamk_f32 v1, v4, 0xcf800000, v1
	v_cvt_u32_f32_e32 v4, v4
	v_cvt_u32_f32_e32 v1, v1
	s_delay_alu instid0(VALU_DEP_2) | instskip(NEXT) | instid1(VALU_DEP_2)
	v_readfirstlane_b32 s2, v4
	v_readfirstlane_b32 s7, v1
	s_delay_alu instid0(VALU_DEP_2) | instskip(NEXT) | instid1(VALU_DEP_1)
	s_mul_i32 s10, s8, s2
	s_mul_hi_u32 s12, s8, s7
	s_mul_i32 s11, s9, s7
	s_add_i32 s10, s12, s10
	s_mul_i32 s13, s8, s7
	s_add_i32 s10, s10, s11
	s_mul_hi_u32 s12, s7, s13
	s_mul_hi_u32 s14, s2, s13
	s_mul_i32 s11, s2, s13
	s_mul_hi_u32 s13, s7, s10
	s_mul_i32 s7, s7, s10
	s_mul_hi_u32 s18, s2, s10
	s_add_u32 s7, s12, s7
	s_addc_u32 s12, 0, s13
	s_add_u32 s7, s7, s11
	s_mul_i32 s10, s2, s10
	s_addc_u32 s7, s12, s14
	s_addc_u32 s11, s18, 0
	s_add_u32 s7, s7, s10
	s_addc_u32 s10, 0, s11
	v_add_co_u32 v1, s7, v1, s7
	s_delay_alu instid0(VALU_DEP_1) | instskip(SKIP_1) | instid1(VALU_DEP_1)
	s_cmp_lg_u32 s7, 0
	s_addc_u32 s2, s2, s10
	v_readfirstlane_b32 s7, v1
	s_mul_i32 s10, s8, s2
	s_delay_alu instid0(VALU_DEP_1)
	s_mul_hi_u32 s11, s8, s7
	s_mul_i32 s9, s9, s7
	s_add_i32 s10, s11, s10
	s_mul_i32 s8, s8, s7
	s_add_i32 s10, s10, s9
	s_mul_hi_u32 s11, s2, s8
	s_mul_i32 s12, s2, s8
	s_mul_hi_u32 s8, s7, s8
	s_mul_hi_u32 s13, s7, s10
	s_mul_i32 s7, s7, s10
	s_mul_hi_u32 s9, s2, s10
	s_add_u32 s7, s8, s7
	s_addc_u32 s8, 0, s13
	s_add_u32 s7, s7, s12
	s_mul_i32 s10, s2, s10
	s_addc_u32 s7, s8, s11
	s_addc_u32 s8, s9, 0
	s_add_u32 s7, s7, s10
	s_addc_u32 s8, 0, s8
	v_add_co_u32 v1, s7, v1, s7
	s_delay_alu instid0(VALU_DEP_1) | instskip(SKIP_2) | instid1(VALU_DEP_1)
	s_cmp_lg_u32 s7, 0
	s_addc_u32 s7, s2, s8
	s_ashr_i32 s8, s3, 31
	v_readfirstlane_b32 s10, v1
	s_add_u32 s2, s6, s8
	s_mov_b32 s9, s8
	s_addc_u32 s3, s3, s8
	s_delay_alu instid0(SALU_CYCLE_1) | instskip(NEXT) | instid1(SALU_CYCLE_1)
	s_xor_b64 s[2:3], s[2:3], s[8:9]
	s_mul_i32 s12, s2, s7
	s_mul_hi_u32 s13, s2, s10
	s_mul_hi_u32 s11, s2, s7
	s_mul_hi_u32 s18, s3, s10
	s_mul_i32 s10, s3, s10
	s_add_u32 s12, s13, s12
	s_addc_u32 s11, 0, s11
	s_mul_hi_u32 s14, s3, s7
	s_add_u32 s10, s12, s10
	s_mul_i32 s7, s3, s7
	s_addc_u32 s10, s11, s18
	s_addc_u32 s11, s14, 0
	s_add_u32 s7, s10, s7
	s_addc_u32 s10, 0, s11
	s_mul_i32 s12, s27, s7
	s_add_u32 s11, s7, 1
	v_sub_co_u32 v1, s2, s2, s12
	s_mul_hi_u32 s12, s27, s7
	s_addc_u32 s13, s10, 0
	s_mul_i32 s14, s27, s10
	s_delay_alu instid0(VALU_DEP_1)
	v_sub_co_u32 v4, s18, v1, s27
	s_add_u32 s19, s7, 2
	s_addc_u32 s20, s10, 0
	s_add_i32 s12, s12, s14
	s_cmp_lg_u32 s2, 0
	v_readfirstlane_b32 s2, v4
	s_subb_u32 s3, s3, s12
	s_cmp_lg_u32 s18, 0
	s_subb_u32 s12, s3, 0
	s_delay_alu instid0(VALU_DEP_1) | instskip(SKIP_4) | instid1(SALU_CYCLE_1)
	s_cmp_ge_u32 s2, s27
	s_cselect_b32 s2, -1, 0
	s_cmp_eq_u32 s12, 0
	v_readfirstlane_b32 s12, v1
	s_cselect_b32 s2, s2, -1
	s_cmp_lg_u32 s2, 0
	s_cselect_b32 s2, s19, s11
	s_cselect_b32 s11, s20, s13
	s_cmp_ge_u32 s12, s27
	s_cselect_b32 s12, -1, 0
	s_cmp_eq_u32 s3, 0
	s_cselect_b32 s3, s12, -1
	s_delay_alu instid0(SALU_CYCLE_1) | instskip(SKIP_2) | instid1(SALU_CYCLE_1)
	s_cmp_lg_u32 s3, 0
	s_cselect_b32 s3, s11, s10
	s_cselect_b32 s2, s2, s7
	s_xor_b64 s[2:3], s[2:3], s[8:9]
	s_delay_alu instid0(SALU_CYCLE_1)
	s_sub_u32 s2, s2, s8
	s_subb_u32 s3, s3, s8
	s_cbranch_execnz .LBB5_5
.LBB5_4:
	v_cvt_f32_u32_e32 v1, s27
	s_sub_i32 s3, 0, s27
	s_delay_alu instid0(VALU_DEP_1) | instskip(SKIP_2) | instid1(VALU_DEP_1)
	v_rcp_iflag_f32_e32 v1, v1
	s_waitcnt_depctr 0xfff
	v_mul_f32_e32 v1, 0x4f7ffffe, v1
	v_cvt_u32_f32_e32 v1, v1
	s_delay_alu instid0(VALU_DEP_1) | instskip(NEXT) | instid1(VALU_DEP_1)
	v_readfirstlane_b32 s2, v1
	s_mul_i32 s3, s3, s2
	s_delay_alu instid0(SALU_CYCLE_1) | instskip(NEXT) | instid1(SALU_CYCLE_1)
	s_mul_hi_u32 s3, s2, s3
	s_add_i32 s2, s2, s3
	s_delay_alu instid0(SALU_CYCLE_1) | instskip(NEXT) | instid1(SALU_CYCLE_1)
	s_mul_hi_u32 s2, s6, s2
	s_mul_i32 s3, s2, s27
	s_delay_alu instid0(SALU_CYCLE_1)
	s_sub_i32 s3, s6, s3
	s_add_i32 s6, s2, 1
	s_sub_i32 s7, s3, s27
	s_cmp_ge_u32 s3, s27
	s_cselect_b32 s2, s6, s2
	s_cselect_b32 s3, s7, s3
	s_add_i32 s6, s2, 1
	s_cmp_ge_u32 s3, s27
	s_mov_b32 s3, 0
	s_cselect_b32 s2, s6, s2
.LBB5_5:
	v_mov_b32_e32 v1, 0
	s_add_u32 s2, s2, 1
	s_addc_u32 s3, s3, 0
	s_mul_hi_u32 s6, s26, s2
	s_mul_i32 s3, s26, s3
	v_mad_u64_u32 v[12:13], null, s5, s15, v[0:1]
	s_mul_hi_u32 s4, s4, s5
	s_add_i32 s3, s6, s3
	s_mul_i32 s4, s4, s2
	s_mul_i32 s2, s26, s2
	s_add_i32 s3, s3, s4
	s_delay_alu instid0(SALU_CYCLE_1)
	s_lshl_b64 s[18:19], s[2:3], 2
	s_mov_b32 s2, exec_lo
	v_cmpx_gt_i64_e64 s[18:19], v[12:13]
	s_cbranch_execz .LBB5_56
; %bb.6:
	v_alignbit_b32 v17, v3, v2, 2
	v_mad_u64_u32 v[6:7], null, 0xcd9e8d57, v12, 0
	v_lshrrev_b32_e32 v18, 2, v3
	s_waitcnt vmcnt(0)
	v_dual_mov_b32 v16, v11 :: v_dual_and_b32 v25, 3, v2
	v_mad_u64_u32 v[4:5], null, 0xd2511f53, v17, 0
	v_add_co_u32 v20, null, 0x9e3779b9, v10
	v_xor3_b32 v3, v10, v7, v18
	s_delay_alu instid0(VALU_DEP_4) | instskip(SKIP_2) | instid1(VALU_DEP_4)
	v_add_co_u32 v19, null, 0xbb67ae85, v16
	v_add_co_u32 v21, null, 0x3c6ef372, v10
	v_xor_b32_e32 v0, v5, v11
	v_mad_u64_u32 v[7:8], null, 0xd2511f53, v3, 0
	v_add_co_u32 v22, null, 0x76cf5d0a, v16
	s_delay_alu instid0(VALU_DEP_3) | instskip(SKIP_2) | instid1(VALU_DEP_3)
	v_xor_b32_e32 v0, v0, v13
	v_add_co_u32 v23, null, 0x32370b8f, v16
	v_add_co_u32 v24, null, 0xdaa66d2b, v10
	v_mad_u64_u32 v[14:15], null, 0xcd9e8d57, v0, 0
	v_xor3_b32 v0, v19, v8, v4
	v_add_co_u32 v28, null, 0x78dde6e4, v10
	v_add_co_u32 v29, null, 0xed9eba14, v16
	s_delay_alu instid0(VALU_DEP_3) | instskip(SKIP_3) | instid1(VALU_DEP_3)
	v_mad_u64_u32 v[3:4], null, 0xcd9e8d57, v0, 0
	v_xor3_b32 v8, v20, v15, v6
	v_add_co_u32 v31, null, 0xa9066899, v16
	v_add_co_u32 v32, null, 0x1715609d, v10
	v_mad_u64_u32 v[5:6], null, 0xd2511f53, v8, 0
	v_xor3_b32 v0, v21, v4, v14
	v_add_co_u32 v33, null, 0xb54cda56, v10
	v_add_co_u32 v35, null, 0x646e171e, v16
	s_load_b256 s[4:11], s[0:1], 0x30
	s_delay_alu instid0(VALU_DEP_4) | instskip(SKIP_2) | instid1(VALU_DEP_3)
	v_xor3_b32 v4, v22, v6, v7
	v_mad_u64_u32 v[6:7], null, 0xd2511f53, v0, 0
	v_add_co_u32 v30, null, 0x5384540f, v10
	v_mad_u64_u32 v[8:9], null, 0xcd9e8d57, v4, 0
	v_add_co_u32 v36, null, 0x1fd5c5a3, v16
	s_delay_alu instid0(VALU_DEP_4) | instskip(SKIP_3) | instid1(VALU_DEP_4)
	v_xor3_b32 v0, v23, v7, v5
	v_add_co_u32 v34, null, 0xf1bbcdc8, v10
	v_add_co_u32 v37, null, 0xdb3d7428, v16
	v_xor3_b32 v7, v24, v9, v3
	v_mad_u64_u32 v[2:3], null, 0xcd9e8d57, v0, 0
	s_add_u32 s20, s0, 48
	s_addc_u32 s21, s1, 0
	s_delay_alu instid0(VALU_DEP_2)
	v_mad_u64_u32 v[4:5], null, 0xd2511f53, v7, 0
	s_waitcnt lgkmcnt(0)
	s_add_i32 s2, s4, -1
	s_clause 0x1
	s_load_b64 s[22:23], s[0:1], 0xf4
	s_load_b128 s[12:15], s[0:1], 0x138
	v_xor3_b32 v0, v28, v3, v8
	s_cmp_lt_u32 s2, 2
	v_add_nc_u32_e32 v26, 0x8ff34781, v10
	s_cselect_b32 s11, -1, 0
	v_xor3_b32 v3, v29, v5, v6
	v_mad_u64_u32 v[5:6], null, 0xd2511f53, v0, 0
	s_cmp_lg_u32 s4, 0
	v_dual_mov_b32 v38, v12 :: v_dual_add_nc_u32 v27, 0x96a522ad, v11
	s_delay_alu instid0(VALU_DEP_3) | instskip(SKIP_1) | instid1(VALU_DEP_3)
	v_mad_u64_u32 v[7:8], null, 0xcd9e8d57, v3, 0
	s_cselect_b32 s29, -1, 0
	v_xor3_b32 v0, v31, v6, v4
	s_add_u32 s24, s0, 0xf4
	s_addc_u32 s25, s1, 0
	s_min_u32 s0, s2, 15
	s_cmp_gt_u32 s4, 1
	s_delay_alu instid0(VALU_DEP_2) | instskip(SKIP_3) | instid1(VALU_DEP_2)
	v_xor3_b32 v4, v32, v8, v2
	v_mad_u64_u32 v[2:3], null, 0xcd9e8d57, v0, 0
	s_cselect_b32 s4, -1, 0
	s_add_i32 s0, s0, 1
	v_mad_u64_u32 v[8:9], null, 0xd2511f53, v4, 0
	s_and_b32 s30, s0, 3
	s_cmp_lg_u32 s2, 2
	s_delay_alu instid0(VALU_DEP_2) | instskip(SKIP_3) | instid1(VALU_DEP_2)
	v_xor3_b32 v0, v33, v3, v7
	s_cselect_b32 s31, -1, 0
	s_and_b32 s33, s0, 28
	s_cmp_lg_u32 s30, 0
	v_xor3_b32 v7, v35, v9, v5
	v_mad_u64_u32 v[3:4], null, 0xd2511f53, v0, 0
	s_mov_b32 s28, 0
	s_cselect_b32 s34, -1, 0
	s_delay_alu instid0(VALU_DEP_2) | instskip(SKIP_2) | instid1(VALU_DEP_2)
	v_mad_u64_u32 v[5:6], null, 0xcd9e8d57, v7, 0
	s_mov_b32 s35, 0x7fffff
	s_mov_b32 s36, 0xbc8cedd3
	v_xor3_b32 v0, v36, v4, v8
	s_mov_b32 s37, 0x3c971480
	s_delay_alu instid0(VALU_DEP_2) | instskip(NEXT) | instid1(VALU_DEP_2)
	v_xor3_b32 v2, v30, v6, v2
	v_mad_u64_u32 v[14:15], null, 0xcd9e8d57, v0, 0
	s_delay_alu instid0(VALU_DEP_2) | instskip(NEXT) | instid1(VALU_DEP_2)
	v_mad_u64_u32 v[39:40], null, 0xd2511f53, v2, 0
	v_xor3_b32 v0, v34, v15, v5
	s_delay_alu instid0(VALU_DEP_2) | instskip(NEXT) | instid1(VALU_DEP_2)
	v_xor3_b32 v4, v37, v40, v3
	v_mad_u64_u32 v[2:3], null, 0xd2511f53, v0, 0
	s_delay_alu instid0(VALU_DEP_2) | instskip(NEXT) | instid1(VALU_DEP_2)
	v_mad_u64_u32 v[6:7], null, 0xcd9e8d57, v4, 0
	v_mov_b32_e32 v8, v2
	s_delay_alu instid0(VALU_DEP_2) | instskip(NEXT) | instid1(VALU_DEP_4)
	v_xor3_b32 v5, v7, v14, v26
	v_xor3_b32 v7, v3, v39, v27
	v_mov_b32_e32 v39, v13
	s_branch .LBB5_9
.LBB5_7:                                ;   in Loop: Header=BB5_9 Depth=1
	s_or_b32 exec_lo, exec_lo, s0
	s_delay_alu instid0(VALU_DEP_2) | instskip(NEXT) | instid1(VALU_DEP_1)
	v_mul_f32_e32 v9, v0, v0
	v_dual_fmaak_f32 v15, s37, v9, 0xbf039337 :: v_dual_and_b32 v8, 1, v8
	v_fmaak_f32 v16, s36, v9, 0x3ec54587
	s_delay_alu instid0(VALU_DEP_2) | instskip(NEXT) | instid1(VALU_DEP_3)
	v_cmp_eq_u32_e32 vcc_lo, 0, v8
	v_fmaak_f32 v15, v9, v15, 0x3f93f425
	s_delay_alu instid0(VALU_DEP_1) | instskip(SKIP_2) | instid1(VALU_DEP_1)
	v_rcp_f32_e32 v15, v15
	s_waitcnt_depctr 0xfff
	v_mul_f32_e32 v15, v16, v15
	v_mul_f32_e32 v9, v9, v15
	s_delay_alu instid0(VALU_DEP_1) | instskip(NEXT) | instid1(VALU_DEP_1)
	v_fma_f32 v15, v9, v0, v0
	v_rcp_f32_e32 v16, v15
	v_sub_f32_e32 v40, v15, v0
	s_delay_alu instid0(VALU_DEP_1) | instskip(SKIP_2) | instid1(VALU_DEP_1)
	v_fma_f32 v0, v9, v0, -v40
	s_waitcnt_depctr 0xfff
	v_fma_f32 v9, v15, -v16, 1.0
	v_fma_f32 v0, v0, -v16, v9
	s_delay_alu instid0(VALU_DEP_1) | instskip(NEXT) | instid1(VALU_DEP_1)
	v_fma_f32 v0, v0, -v16, -v16
	v_cndmask_b32_e32 v0, v0, v15, vcc_lo
	v_cmp_class_f32_e64 vcc_lo, v6, 0x1f8
	s_delay_alu instid0(VALU_DEP_2) | instskip(NEXT) | instid1(VALU_DEP_1)
	v_xor3_b32 v0, v7, v6, v0
	v_cndmask_b32_e32 v0, 0x7fc00000, v0, vcc_lo
	s_waitcnt lgkmcnt(0)
	s_delay_alu instid0(VALU_DEP_1)
	v_fma_f32 v0, s15, v0, s14
	global_store_b32 v5, v0, s[12:13]
.LBB5_8:                                ;   in Loop: Header=BB5_9 Depth=1
	s_or_b32 exec_lo, exec_lo, s38
	v_add_co_u32 v12, vcc_lo, v12, s27
	v_add_co_ci_u32_e32 v13, vcc_lo, 0, v13, vcc_lo
	v_mov_b32_e32 v5, v14
	s_waitcnt lgkmcnt(0)
	s_waitcnt_vscnt null, 0x0
	s_barrier
	v_cmp_le_i64_e32 vcc_lo, s[18:19], v[12:13]
	buffer_gl0_inv
	v_mov_b32_e32 v8, v5
	v_dual_mov_b32 v7, v4 :: v_dual_mov_b32 v6, v3
	v_mov_b32_e32 v5, v2
	s_or_b32 s28, vcc_lo, s28
	s_delay_alu instid0(SALU_CYCLE_1)
	s_and_not1_b32 exec_lo, exec_lo, s28
	s_cbranch_execz .LBB5_56
.LBB5_9:                                ; =>This Loop Header: Depth=1
                                        ;     Child Loop BB5_28 Depth 2
                                        ;     Child Loop BB5_32 Depth 2
	;; [unrolled: 1-line block ×4, first 2 shown]
	v_add_co_u32 v17, vcc_lo, v17, 1
	s_delay_alu instid0(VALU_DEP_1) | instskip(SKIP_1) | instid1(VALU_DEP_3)
	v_cndmask_b32_e64 v0, 0, 1, vcc_lo
	v_add_co_ci_u32_e32 v18, vcc_lo, 0, v18, vcc_lo
	v_mad_u64_u32 v[2:3], null, 0xd2511f53, v17, 0
	s_mov_b32 s0, exec_lo
	s_delay_alu instid0(VALU_DEP_2) | instskip(SKIP_1) | instid1(VALU_DEP_1)
	v_cmp_eq_u32_e32 vcc_lo, 0, v18
	v_cndmask_b32_e32 v0, 0, v0, vcc_lo
	v_add_nc_u32_e32 v38, v0, v38
	s_delay_alu instid0(VALU_DEP_1) | instskip(SKIP_2) | instid1(VALU_DEP_2)
	v_cmp_eq_u32_e32 vcc_lo, 0, v38
	v_mad_u64_u32 v[14:15], null, 0xcd9e8d57, v38, 0
	v_cndmask_b32_e32 v0, 0, v0, vcc_lo
	v_xor3_b32 v9, v15, v10, v18
	s_delay_alu instid0(VALU_DEP_2) | instskip(SKIP_1) | instid1(VALU_DEP_3)
	v_add_nc_u32_e32 v39, v0, v39
	v_xor_b32_e32 v0, v3, v11
	v_mad_u64_u32 v[3:4], null, 0xd2511f53, v9, 0
	s_delay_alu instid0(VALU_DEP_2) | instskip(NEXT) | instid1(VALU_DEP_1)
	v_xor_b32_e32 v0, v39, v0
	v_mad_u64_u32 v[15:16], null, 0xcd9e8d57, v0, 0
	s_delay_alu instid0(VALU_DEP_3) | instskip(NEXT) | instid1(VALU_DEP_1)
	v_xor3_b32 v0, v19, v4, v2
	v_mad_u64_u32 v[40:41], null, 0xcd9e8d57, v0, 0
	s_delay_alu instid0(VALU_DEP_3) | instskip(NEXT) | instid1(VALU_DEP_1)
	v_xor3_b32 v2, v20, v16, v14
	v_mad_u64_u32 v[42:43], null, 0xd2511f53, v2, 0
	s_delay_alu instid0(VALU_DEP_3) | instskip(NEXT) | instid1(VALU_DEP_2)
	v_xor3_b32 v0, v21, v41, v15
	v_xor3_b32 v4, v22, v43, v3
	s_delay_alu instid0(VALU_DEP_2) | instskip(NEXT) | instid1(VALU_DEP_2)
	v_mad_u64_u32 v[2:3], null, 0xd2511f53, v0, 0
	v_mad_u64_u32 v[14:15], null, 0xcd9e8d57, v4, 0
	s_delay_alu instid0(VALU_DEP_2) | instskip(NEXT) | instid1(VALU_DEP_2)
	v_xor3_b32 v0, v23, v3, v42
	v_xor3_b32 v9, v24, v15, v40
	s_delay_alu instid0(VALU_DEP_2) | instskip(NEXT) | instid1(VALU_DEP_2)
	v_mad_u64_u32 v[3:4], null, 0xcd9e8d57, v0, 0
	v_mad_u64_u32 v[15:16], null, 0xd2511f53, v9, 0
	s_delay_alu instid0(VALU_DEP_2) | instskip(NEXT) | instid1(VALU_DEP_2)
	v_xor3_b32 v0, v28, v4, v14
	v_xor3_b32 v2, v29, v16, v2
	s_delay_alu instid0(VALU_DEP_2) | instskip(NEXT) | instid1(VALU_DEP_2)
	v_mad_u64_u32 v[40:41], null, 0xd2511f53, v0, 0
	v_mad_u64_u32 v[42:43], null, 0xcd9e8d57, v2, 0
	s_delay_alu instid0(VALU_DEP_2) | instskip(NEXT) | instid1(VALU_DEP_2)
	v_xor3_b32 v0, v31, v41, v15
	v_xor3_b32 v4, v32, v43, v3
	s_delay_alu instid0(VALU_DEP_2) | instskip(NEXT) | instid1(VALU_DEP_2)
	v_mad_u64_u32 v[2:3], null, 0xcd9e8d57, v0, 0
	v_mad_u64_u32 v[14:15], null, 0xd2511f53, v4, 0
	s_delay_alu instid0(VALU_DEP_2) | instskip(NEXT) | instid1(VALU_DEP_2)
	v_xor3_b32 v0, v33, v3, v42
	v_xor3_b32 v9, v35, v15, v40
	s_delay_alu instid0(VALU_DEP_2) | instskip(NEXT) | instid1(VALU_DEP_2)
	v_mad_u64_u32 v[3:4], null, 0xd2511f53, v0, 0
	v_mad_u64_u32 v[15:16], null, 0xcd9e8d57, v9, 0
	s_delay_alu instid0(VALU_DEP_2) | instskip(NEXT) | instid1(VALU_DEP_2)
	v_xor3_b32 v0, v36, v4, v14
	v_xor3_b32 v2, v30, v16, v2
	s_delay_alu instid0(VALU_DEP_2) | instskip(NEXT) | instid1(VALU_DEP_2)
	v_mad_u64_u32 v[40:41], null, 0xcd9e8d57, v0, 0
	v_mad_u64_u32 v[42:43], null, 0xd2511f53, v2, 0
	s_delay_alu instid0(VALU_DEP_2) | instskip(NEXT) | instid1(VALU_DEP_2)
	v_xor3_b32 v0, v34, v41, v15
	v_xor3_b32 v2, v37, v43, v3
	s_delay_alu instid0(VALU_DEP_2) | instskip(NEXT) | instid1(VALU_DEP_2)
	v_mad_u64_u32 v[14:15], null, 0xd2511f53, v0, 0
	v_mad_u64_u32 v[3:4], null, 0xcd9e8d57, v2, 0
	s_delay_alu instid0(VALU_DEP_2) | instskip(NEXT) | instid1(VALU_DEP_2)
	v_xor3_b32 v9, v15, v42, v27
	v_xor3_b32 v2, v4, v40, v26
	s_delay_alu instid0(VALU_DEP_2)
	v_mov_b32_e32 v4, v9
	v_cmpx_lt_i32_e32 1, v25
	s_xor_b32 s0, exec_lo, s0
	s_cbranch_execnz .LBB5_12
; %bb.10:                               ;   in Loop: Header=BB5_9 Depth=1
	s_and_not1_saveexec_b32 s0, s0
	s_cbranch_execnz .LBB5_17
.LBB5_11:                               ;   in Loop: Header=BB5_9 Depth=1
	s_or_b32 exec_lo, exec_lo, s0
	s_delay_alu instid0(SALU_CYCLE_1)
	s_mov_b32 s38, exec_lo
	v_cmpx_gt_i64_e64 s[16:17], v[12:13]
	s_cbranch_execnz .LBB5_20
	s_branch .LBB5_38
.LBB5_12:                               ;   in Loop: Header=BB5_9 Depth=1
	s_mov_b32 s1, exec_lo
	v_cmpx_lt_i32_e32 2, v25
	s_xor_b32 s1, exec_lo, s1
; %bb.13:                               ;   in Loop: Header=BB5_9 Depth=1
	v_dual_mov_b32 v6, v8 :: v_dual_mov_b32 v7, v2
	v_mov_b32_e32 v8, v3
	s_delay_alu instid0(VALU_DEP_2) | instskip(NEXT) | instid1(VALU_DEP_3)
	v_mov_b32_e32 v5, v6
	v_mov_b32_e32 v6, v7
	s_delay_alu instid0(VALU_DEP_3)
	v_mov_b32_e32 v7, v8
	v_mov_b32_e32 v8, v9
; %bb.14:                               ;   in Loop: Header=BB5_9 Depth=1
	s_and_not1_saveexec_b32 s1, s1
; %bb.15:                               ;   in Loop: Header=BB5_9 Depth=1
	s_delay_alu instid0(VALU_DEP_1)
	v_dual_mov_b32 v5, v7 :: v_dual_mov_b32 v6, v8
	v_dual_mov_b32 v7, v2 :: v_dual_mov_b32 v8, v3
; %bb.16:                               ;   in Loop: Header=BB5_9 Depth=1
	s_or_b32 exec_lo, exec_lo, s1
	s_and_not1_saveexec_b32 s0, s0
	s_cbranch_execz .LBB5_11
.LBB5_17:                               ;   in Loop: Header=BB5_9 Depth=1
	s_mov_b32 s1, exec_lo
	v_cmpx_eq_u32_e32 1, v25
; %bb.18:                               ;   in Loop: Header=BB5_9 Depth=1
	v_dual_mov_b32 v5, v6 :: v_dual_mov_b32 v6, v7
	v_dual_mov_b32 v7, v8 :: v_dual_mov_b32 v8, v2
; %bb.19:                               ;   in Loop: Header=BB5_9 Depth=1
	s_or_b32 exec_lo, exec_lo, s1
	s_delay_alu instid0(SALU_CYCLE_1) | instskip(NEXT) | instid1(SALU_CYCLE_1)
	s_or_b32 exec_lo, exec_lo, s0
	s_mov_b32 s38, exec_lo
	v_cmpx_gt_i64_e64 s[16:17], v[12:13]
	s_cbranch_execz .LBB5_38
.LBB5_20:                               ;   in Loop: Header=BB5_9 Depth=1
	s_and_b32 vcc_lo, exec_lo, s11
	s_cbranch_vccz .LBB5_24
; %bb.21:                               ;   in Loop: Header=BB5_9 Depth=1
	v_mul_hi_u32 v0, v12, s6
	s_and_not1_b32 vcc_lo, exec_lo, s4
	s_delay_alu instid0(VALU_DEP_1) | instskip(NEXT) | instid1(VALU_DEP_1)
	v_add_nc_u32_e32 v0, v0, v12
	v_lshrrev_b32_e32 v0, s7, v0
	s_delay_alu instid0(VALU_DEP_1) | instskip(NEXT) | instid1(VALU_DEP_1)
	v_mul_lo_u32 v9, v0, s5
	v_sub_nc_u32_e32 v9, v12, v9
	s_waitcnt lgkmcnt(0)
	s_delay_alu instid0(VALU_DEP_1)
	v_mul_lo_u32 v9, v9, s22
	s_cbranch_vccnz .LBB5_23
; %bb.22:                               ;   in Loop: Header=BB5_9 Depth=1
	v_mul_hi_u32 v15, s9, v0
	s_delay_alu instid0(VALU_DEP_1) | instskip(NEXT) | instid1(VALU_DEP_1)
	v_add_nc_u32_e32 v15, v0, v15
	v_lshrrev_b32_e32 v15, s10, v15
	s_delay_alu instid0(VALU_DEP_1) | instskip(NEXT) | instid1(VALU_DEP_1)
	v_mul_lo_u32 v15, v15, s8
	v_sub_nc_u32_e32 v0, v0, v15
	s_delay_alu instid0(VALU_DEP_1) | instskip(NEXT) | instid1(VALU_DEP_1)
	v_mad_u64_u32 v[15:16], null, v0, s23, v[9:10]
	v_mov_b32_e32 v9, v15
.LBB5_23:                               ;   in Loop: Header=BB5_9 Depth=1
	s_cbranch_execz .LBB5_25
	s_branch .LBB5_33
.LBB5_24:                               ;   in Loop: Header=BB5_9 Depth=1
                                        ; implicit-def: $vgpr9
.LBB5_25:                               ;   in Loop: Header=BB5_9 Depth=1
	v_mov_b32_e32 v9, 0
	s_and_not1_b32 vcc_lo, exec_lo, s29
	s_cbranch_vccnz .LBB5_33
; %bb.26:                               ;   in Loop: Header=BB5_9 Depth=1
	s_and_not1_b32 vcc_lo, exec_lo, s31
	s_mov_b32 s0, 0
	s_cbranch_vccnz .LBB5_30
; %bb.27:                               ;   in Loop: Header=BB5_9 Depth=1
	v_dual_mov_b32 v9, 0 :: v_dual_mov_b32 v0, v12
	s_mov_b32 s39, 0
	s_mov_b64 s[0:1], s[20:21]
	s_mov_b64 s[2:3], s[24:25]
.LBB5_28:                               ;   Parent Loop BB5_9 Depth=1
                                        ; =>  This Inner Loop Header: Depth=2
	s_clause 0x1
	s_load_b256 s[40:47], s[0:1], 0x4
	s_load_b128 s[48:51], s[0:1], 0x24
	s_load_b128 s[52:55], s[2:3], 0x0
	s_add_u32 s0, s0, 48
	s_addc_u32 s1, s1, 0
	s_add_i32 s39, s39, 4
	s_add_u32 s2, s2, 16
	s_addc_u32 s3, s3, 0
	s_cmp_lg_u32 s33, s39
	s_waitcnt lgkmcnt(0)
	v_mul_hi_u32 v15, s41, v0
	s_delay_alu instid0(VALU_DEP_1) | instskip(NEXT) | instid1(VALU_DEP_1)
	v_add_nc_u32_e32 v15, v0, v15
	v_lshrrev_b32_e32 v15, s42, v15
	s_delay_alu instid0(VALU_DEP_1) | instskip(SKIP_1) | instid1(VALU_DEP_2)
	v_mul_hi_u32 v16, s44, v15
	v_mul_lo_u32 v42, v15, s40
	v_add_nc_u32_e32 v16, v15, v16
	s_delay_alu instid0(VALU_DEP_2) | instskip(NEXT) | instid1(VALU_DEP_2)
	v_sub_nc_u32_e32 v42, v0, v42
	v_lshrrev_b32_e32 v16, s45, v16
	s_delay_alu instid0(VALU_DEP_2) | instskip(NEXT) | instid1(VALU_DEP_2)
	v_mul_lo_u32 v42, v42, s52
	v_mul_hi_u32 v40, s47, v16
	v_mul_lo_u32 v43, v16, s43
	s_delay_alu instid0(VALU_DEP_2) | instskip(NEXT) | instid1(VALU_DEP_2)
	v_add_nc_u32_e32 v40, v16, v40
	v_sub_nc_u32_e32 v15, v15, v43
	s_delay_alu instid0(VALU_DEP_2) | instskip(NEXT) | instid1(VALU_DEP_2)
	v_lshrrev_b32_e32 v40, s48, v40
	v_mul_lo_u32 v15, v15, s53
	s_delay_alu instid0(VALU_DEP_2) | instskip(NEXT) | instid1(VALU_DEP_2)
	v_mul_hi_u32 v41, s50, v40
	v_add3_u32 v9, v42, v9, v15
	s_delay_alu instid0(VALU_DEP_2) | instskip(NEXT) | instid1(VALU_DEP_1)
	v_add_nc_u32_e32 v41, v40, v41
	v_lshrrev_b32_e32 v0, s51, v41
	v_mul_lo_u32 v41, v40, s46
	s_delay_alu instid0(VALU_DEP_2) | instskip(NEXT) | instid1(VALU_DEP_2)
	v_mul_lo_u32 v44, v0, s49
	v_sub_nc_u32_e32 v16, v16, v41
	s_delay_alu instid0(VALU_DEP_2) | instskip(NEXT) | instid1(VALU_DEP_2)
	v_sub_nc_u32_e32 v40, v40, v44
	v_mul_lo_u32 v16, v16, s54
	s_delay_alu instid0(VALU_DEP_2) | instskip(NEXT) | instid1(VALU_DEP_1)
	v_mul_lo_u32 v40, v40, s55
	v_add3_u32 v9, v16, v9, v40
	s_cbranch_scc1 .LBB5_28
; %bb.29:                               ;   in Loop: Header=BB5_9 Depth=1
	s_mov_b32 s0, s33
	s_and_not1_b32 vcc_lo, exec_lo, s34
	s_cbranch_vccz .LBB5_31
	s_branch .LBB5_33
.LBB5_30:                               ;   in Loop: Header=BB5_9 Depth=1
	v_mov_b32_e32 v0, v12
	s_and_not1_b32 vcc_lo, exec_lo, s34
	s_cbranch_vccnz .LBB5_33
.LBB5_31:                               ;   in Loop: Header=BB5_9 Depth=1
	s_lshl_b32 s1, s0, 2
	s_mul_i32 s2, s0, 12
	s_add_u32 s0, s24, s1
	s_addc_u32 s1, s25, 0
	s_add_u32 s2, s20, s2
	s_addc_u32 s3, s21, 0
	s_mov_b32 s39, s30
	.p2align	6
.LBB5_32:                               ;   Parent Loop BB5_9 Depth=1
                                        ; =>  This Inner Loop Header: Depth=2
	s_clause 0x1
	s_load_b64 s[40:41], s[2:3], 0x4
	s_load_b32 s42, s[2:3], 0xc
	s_add_u32 s2, s2, 12
	s_addc_u32 s3, s3, 0
	s_waitcnt lgkmcnt(0)
	v_mul_hi_u32 v15, s41, v0
	s_load_b32 s41, s[0:1], 0x0
	s_add_u32 s0, s0, 4
	s_addc_u32 s1, s1, 0
	s_add_i32 s39, s39, -1
	s_delay_alu instid0(SALU_CYCLE_1) | instskip(NEXT) | instid1(VALU_DEP_1)
	s_cmp_eq_u32 s39, 0
	v_add_nc_u32_e32 v15, v0, v15
	s_delay_alu instid0(VALU_DEP_1) | instskip(NEXT) | instid1(VALU_DEP_1)
	v_lshrrev_b32_e32 v40, s42, v15
	v_mul_lo_u32 v15, v40, s40
	s_delay_alu instid0(VALU_DEP_1) | instskip(SKIP_1) | instid1(VALU_DEP_1)
	v_sub_nc_u32_e32 v0, v0, v15
	s_waitcnt lgkmcnt(0)
	v_mad_u64_u32 v[15:16], null, v0, s41, v[9:10]
	s_delay_alu instid0(VALU_DEP_1)
	v_dual_mov_b32 v0, v40 :: v_dual_mov_b32 v9, v15
	s_cbranch_scc0 .LBB5_32
.LBB5_33:                               ;   in Loop: Header=BB5_9 Depth=1
	v_lshrrev_b32_e32 v0, 11, v6
	v_cvt_f64_u32_e32 v[5:6], v5
	s_mov_b32 s1, exec_lo
	s_delay_alu instid0(VALU_DEP_2) | instskip(NEXT) | instid1(VALU_DEP_1)
	v_cvt_f64_u32_e32 v[15:16], v0
	v_ldexp_f64 v[15:16], v[15:16], 32
	s_delay_alu instid0(VALU_DEP_1) | instskip(NEXT) | instid1(VALU_DEP_1)
	v_add_f64 v[5:6], v[15:16], v[5:6]
                                        ; implicit-def: $vgpr15
	v_fma_f64 v[5:6], 0x3ca00000, v[5:6], 0x3ca00000
	s_delay_alu instid0(VALU_DEP_1) | instskip(NEXT) | instid1(VALU_DEP_1)
	v_cvt_f32_f64_e32 v0, v[5:6]
	v_cmp_nlt_f32_e32 vcc_lo, 0x3f7ffffe, v0
	v_cndmask_b32_e32 v0, 0x3f7ffffe, v0, vcc_lo
	s_delay_alu instid0(VALU_DEP_1) | instskip(SKIP_1) | instid1(VALU_DEP_1)
	v_cmp_ngt_f32_e32 vcc_lo, 0x34000000, v0
	v_cndmask_b32_e32 v0, 0x34000000, v0, vcc_lo
	v_add_f32_e32 v0, -0.5, v0
	s_delay_alu instid0(VALU_DEP_1) | instskip(NEXT) | instid1(VALU_DEP_1)
	v_mul_f32_e32 v5, 0x40490fdb, v0
                                        ; implicit-def: $vgpr0
	v_and_b32_e32 v6, 0x7fffffff, v5
	v_cmpx_ngt_f32_e64 0x48000000, |v5|
	s_xor_b32 s3, exec_lo, s1
	s_cbranch_execz .LBB5_35
; %bb.34:                               ;   in Loop: Header=BB5_9 Depth=1
	s_delay_alu instid0(VALU_DEP_2) | instskip(NEXT) | instid1(VALU_DEP_1)
	v_and_or_b32 v47, v6, s35, 0x800000
	v_mad_u64_u32 v[15:16], null, 0xfe5163ab, v47, 0
	s_delay_alu instid0(VALU_DEP_1) | instskip(SKIP_1) | instid1(VALU_DEP_2)
	v_mov_b32_e32 v0, v16
	v_lshrrev_b32_e32 v16, 23, v6
	v_mad_u64_u32 v[40:41], null, 0x3c439041, v47, v[0:1]
	s_delay_alu instid0(VALU_DEP_2) | instskip(NEXT) | instid1(VALU_DEP_1)
	v_add_nc_u32_e32 v16, 0xffffff88, v16
	v_cmp_lt_u32_e32 vcc_lo, 63, v16
	s_delay_alu instid0(VALU_DEP_3) | instskip(SKIP_1) | instid1(VALU_DEP_2)
	v_mov_b32_e32 v0, v41
	v_cndmask_b32_e64 v45, 0, 0xffffffc0, vcc_lo
	v_mad_u64_u32 v[41:42], null, 0xdb629599, v47, v[0:1]
	s_delay_alu instid0(VALU_DEP_2) | instskip(NEXT) | instid1(VALU_DEP_2)
	v_add_nc_u32_e32 v16, v45, v16
	v_mov_b32_e32 v0, v42
	s_delay_alu instid0(VALU_DEP_2) | instskip(NEXT) | instid1(VALU_DEP_4)
	v_cmp_lt_u32_e64 s0, 31, v16
	v_cndmask_b32_e32 v15, v41, v15, vcc_lo
	s_delay_alu instid0(VALU_DEP_3) | instskip(NEXT) | instid1(VALU_DEP_3)
	v_mad_u64_u32 v[42:43], null, 0xf534ddc0, v47, v[0:1]
	v_cndmask_b32_e64 v46, 0, 0xffffffe0, s0
	s_delay_alu instid0(VALU_DEP_1) | instskip(NEXT) | instid1(VALU_DEP_3)
	v_add_nc_u32_e32 v16, v46, v16
	v_mov_b32_e32 v0, v43
	s_delay_alu instid0(VALU_DEP_2) | instskip(NEXT) | instid1(VALU_DEP_2)
	v_cmp_lt_u32_e64 s1, 31, v16
	v_mad_u64_u32 v[43:44], null, 0xfc2757d1, v47, v[0:1]
	s_delay_alu instid0(VALU_DEP_1) | instskip(NEXT) | instid1(VALU_DEP_1)
	v_mov_b32_e32 v0, v44
	v_mad_u64_u32 v[44:45], null, 0x4e441529, v47, v[0:1]
	s_delay_alu instid0(VALU_DEP_1) | instskip(NEXT) | instid1(VALU_DEP_1)
	v_mov_b32_e32 v0, v45
	v_mad_u64_u32 v[45:46], null, 0xa2f9836e, v47, v[0:1]
	v_cndmask_b32_e64 v0, 0, 0xffffffe0, s1
	s_delay_alu instid0(VALU_DEP_4) | instskip(NEXT) | instid1(VALU_DEP_2)
	v_cndmask_b32_e32 v47, v44, v42, vcc_lo
	v_dual_cndmask_b32 v45, v45, v43 :: v_dual_add_nc_u32 v0, v0, v16
	s_delay_alu instid0(VALU_DEP_4) | instskip(SKIP_1) | instid1(VALU_DEP_3)
	v_dual_cndmask_b32 v44, v46, v44 :: v_dual_cndmask_b32 v43, v43, v41
	v_cndmask_b32_e32 v16, v42, v40, vcc_lo
	v_cmp_eq_u32_e64 s2, 0, v0
	s_delay_alu instid0(VALU_DEP_4) | instskip(NEXT) | instid1(VALU_DEP_4)
	v_cndmask_b32_e64 v40, v45, v47, s0
	v_cndmask_b32_e64 v42, v44, v45, s0
	;; [unrolled: 1-line block ×3, first 2 shown]
	v_sub_nc_u32_e32 v45, 32, v0
	v_cndmask_b32_e64 v43, v43, v16, s0
	v_cndmask_b32_e64 v15, v16, v15, s0
	;; [unrolled: 1-line block ×4, first 2 shown]
	s_delay_alu instid0(VALU_DEP_4) | instskip(NEXT) | instid1(VALU_DEP_4)
	v_cndmask_b32_e64 v44, v44, v43, s1
	v_cndmask_b32_e64 v15, v43, v15, s1
	s_delay_alu instid0(VALU_DEP_3) | instskip(NEXT) | instid1(VALU_DEP_3)
	v_alignbit_b32 v46, v42, v40, v45
	v_alignbit_b32 v47, v40, v44, v45
	s_delay_alu instid0(VALU_DEP_3) | instskip(NEXT) | instid1(VALU_DEP_3)
	v_alignbit_b32 v45, v44, v15, v45
	v_cndmask_b32_e64 v0, v46, v42, s2
	s_delay_alu instid0(VALU_DEP_3) | instskip(NEXT) | instid1(VALU_DEP_3)
	v_cndmask_b32_e64 v40, v47, v40, s2
	v_cndmask_b32_e64 v44, v45, v44, s2
	s_delay_alu instid0(VALU_DEP_3) | instskip(NEXT) | instid1(VALU_DEP_3)
	v_bfe_u32 v41, v0, 29, 1
	v_alignbit_b32 v16, v0, v40, 30
	s_delay_alu instid0(VALU_DEP_3) | instskip(SKIP_1) | instid1(VALU_DEP_4)
	v_alignbit_b32 v40, v40, v44, 30
	v_alignbit_b32 v15, v44, v15, 30
	v_sub_nc_u32_e32 v42, 0, v41
	s_delay_alu instid0(VALU_DEP_1) | instskip(SKIP_3) | instid1(VALU_DEP_4)
	v_xor_b32_e32 v43, v16, v42
	v_cmp_ne_u32_e32 vcc_lo, v16, v42
	v_xor_b32_e32 v40, v40, v42
	v_xor_b32_e32 v15, v15, v42
	v_clz_i32_u32_e32 v46, v43
	s_delay_alu instid0(VALU_DEP_1) | instskip(NEXT) | instid1(VALU_DEP_1)
	v_add_nc_u32_e32 v45, 1, v46
	v_cndmask_b32_e32 v16, 33, v45, vcc_lo
	s_delay_alu instid0(VALU_DEP_1) | instskip(NEXT) | instid1(VALU_DEP_1)
	v_sub_nc_u32_e32 v44, 32, v16
	v_alignbit_b32 v42, v43, v40, v44
	v_alignbit_b32 v15, v40, v15, v44
	v_lshrrev_b32_e32 v40, 29, v0
	s_delay_alu instid0(VALU_DEP_2) | instskip(NEXT) | instid1(VALU_DEP_2)
	v_alignbit_b32 v43, v42, v15, 9
	v_lshlrev_b32_e32 v40, 31, v40
	v_alignbit_b32 v42, v16, v42, 9
	s_delay_alu instid0(VALU_DEP_3) | instskip(NEXT) | instid1(VALU_DEP_2)
	v_clz_i32_u32_e32 v44, v43
	v_or_b32_e32 v42, v42, v40
	v_or_b32_e32 v40, 0x33800000, v40
	s_delay_alu instid0(VALU_DEP_3) | instskip(NEXT) | instid1(VALU_DEP_3)
	v_min_u32_e32 v44, 32, v44
	v_xor_b32_e32 v42, 1.0, v42
	s_delay_alu instid0(VALU_DEP_2) | instskip(SKIP_1) | instid1(VALU_DEP_3)
	v_sub_nc_u32_e32 v45, 31, v44
	v_add_lshl_u32 v16, v44, v16, 23
	v_mul_f32_e32 v44, 0x3fc90fda, v42
	s_delay_alu instid0(VALU_DEP_3) | instskip(NEXT) | instid1(VALU_DEP_3)
	v_alignbit_b32 v15, v43, v15, v45
	v_sub_nc_u32_e32 v16, v40, v16
	s_delay_alu instid0(VALU_DEP_3) | instskip(NEXT) | instid1(VALU_DEP_3)
	v_fma_f32 v40, 0x3fc90fda, v42, -v44
	v_lshrrev_b32_e32 v15, 9, v15
	s_delay_alu instid0(VALU_DEP_2) | instskip(NEXT) | instid1(VALU_DEP_2)
	v_fmac_f32_e32 v40, 0x33a22168, v42
	v_or_b32_e32 v15, v16, v15
	s_delay_alu instid0(VALU_DEP_1) | instskip(SKIP_1) | instid1(VALU_DEP_1)
	v_fmac_f32_e32 v40, 0x3fc90fda, v15
	v_lshrrev_b32_e32 v15, 30, v0
	v_dual_add_f32 v0, v44, v40 :: v_dual_add_nc_u32 v15, v41, v15
.LBB5_35:                               ;   in Loop: Header=BB5_9 Depth=1
	s_and_not1_saveexec_b32 s0, s3
; %bb.36:                               ;   in Loop: Header=BB5_9 Depth=1
	v_mul_f32_e64 v0, 0x3f22f983, |v5|
	s_delay_alu instid0(VALU_DEP_1) | instskip(NEXT) | instid1(VALU_DEP_1)
	v_rndne_f32_e32 v15, v0
	v_fma_f32 v0, 0xbfc90fda, v15, |v5|
	s_delay_alu instid0(VALU_DEP_1) | instskip(NEXT) | instid1(VALU_DEP_1)
	v_fmac_f32_e32 v0, 0xb3a22168, v15
	v_fmac_f32_e32 v0, 0xa7c234c4, v15
	v_cvt_i32_f32_e32 v15, v15
; %bb.37:                               ;   in Loop: Header=BB5_9 Depth=1
	s_or_b32 exec_lo, exec_lo, s0
	s_delay_alu instid0(VALU_DEP_1) | instskip(NEXT) | instid1(VALU_DEP_1)
	v_dual_mul_f32 v16, v0, v0 :: v_dual_and_b32 v15, 1, v15
	v_fmaak_f32 v40, s37, v16, 0xbf039337
	v_fmaak_f32 v41, s36, v16, 0x3ec54587
	s_delay_alu instid0(VALU_DEP_3) | instskip(NEXT) | instid1(VALU_DEP_3)
	v_cmp_eq_u32_e32 vcc_lo, 0, v15
	v_fmaak_f32 v40, v16, v40, 0x3f93f425
	s_delay_alu instid0(VALU_DEP_1) | instskip(SKIP_2) | instid1(VALU_DEP_1)
	v_rcp_f32_e32 v40, v40
	s_waitcnt_depctr 0xfff
	v_mul_f32_e32 v40, v41, v40
	v_mul_f32_e32 v16, v16, v40
	s_delay_alu instid0(VALU_DEP_1) | instskip(NEXT) | instid1(VALU_DEP_1)
	v_fma_f32 v40, v16, v0, v0
	v_rcp_f32_e32 v41, v40
	v_sub_f32_e32 v42, v40, v0
	s_delay_alu instid0(VALU_DEP_1) | instskip(SKIP_2) | instid1(VALU_DEP_1)
	v_fma_f32 v0, v16, v0, -v42
	s_waitcnt_depctr 0xfff
	v_fma_f32 v16, v40, -v41, 1.0
	v_fma_f32 v0, v0, -v41, v16
	s_delay_alu instid0(VALU_DEP_1) | instskip(NEXT) | instid1(VALU_DEP_1)
	v_fma_f32 v0, v0, -v41, -v41
	v_cndmask_b32_e32 v0, v0, v40, vcc_lo
	v_cmp_class_f32_e64 vcc_lo, v5, 0x1f8
	s_delay_alu instid0(VALU_DEP_2) | instskip(NEXT) | instid1(VALU_DEP_1)
	v_xor3_b32 v0, v6, v5, v0
	v_cndmask_b32_e32 v0, 0x7fc00000, v0, vcc_lo
	s_waitcnt lgkmcnt(0)
	s_delay_alu instid0(VALU_DEP_1)
	v_fma_f32 v0, s15, v0, s14
	global_store_b32 v9, v0, s[12:13]
.LBB5_38:                               ;   in Loop: Header=BB5_9 Depth=1
	s_or_b32 exec_lo, exec_lo, s38
	v_add_co_u32 v15, vcc_lo, v12, s26
	v_add_co_ci_u32_e32 v16, vcc_lo, 0, v13, vcc_lo
	s_mov_b32 s38, exec_lo
	s_delay_alu instid0(VALU_DEP_1)
	v_cmpx_gt_i64_e64 s[16:17], v[15:16]
	s_cbranch_execz .LBB5_8
; %bb.39:                               ;   in Loop: Header=BB5_9 Depth=1
	s_and_b32 vcc_lo, exec_lo, s11
	s_cbranch_vccz .LBB5_43
; %bb.40:                               ;   in Loop: Header=BB5_9 Depth=1
	v_mul_hi_u32 v0, v15, s6
	s_and_not1_b32 vcc_lo, exec_lo, s4
	s_delay_alu instid0(VALU_DEP_1) | instskip(NEXT) | instid1(VALU_DEP_1)
	v_add_nc_u32_e32 v0, v0, v15
	v_lshrrev_b32_e32 v0, s7, v0
	s_delay_alu instid0(VALU_DEP_1) | instskip(NEXT) | instid1(VALU_DEP_1)
	v_mul_lo_u32 v5, v0, s5
	v_sub_nc_u32_e32 v5, v15, v5
	s_waitcnt lgkmcnt(0)
	s_delay_alu instid0(VALU_DEP_1)
	v_mul_lo_u32 v5, v5, s22
	s_cbranch_vccnz .LBB5_42
; %bb.41:                               ;   in Loop: Header=BB5_9 Depth=1
	v_mul_hi_u32 v6, s9, v0
	s_delay_alu instid0(VALU_DEP_1) | instskip(NEXT) | instid1(VALU_DEP_1)
	v_add_nc_u32_e32 v6, v0, v6
	v_lshrrev_b32_e32 v6, s10, v6
	s_delay_alu instid0(VALU_DEP_1) | instskip(NEXT) | instid1(VALU_DEP_1)
	v_mul_lo_u32 v6, v6, s8
	v_sub_nc_u32_e32 v0, v0, v6
	s_delay_alu instid0(VALU_DEP_1) | instskip(NEXT) | instid1(VALU_DEP_1)
	v_mad_u64_u32 v[40:41], null, v0, s23, v[5:6]
	v_mov_b32_e32 v5, v40
.LBB5_42:                               ;   in Loop: Header=BB5_9 Depth=1
	s_cbranch_execz .LBB5_44
	s_branch .LBB5_52
.LBB5_43:                               ;   in Loop: Header=BB5_9 Depth=1
                                        ; implicit-def: $vgpr5
.LBB5_44:                               ;   in Loop: Header=BB5_9 Depth=1
	v_mov_b32_e32 v5, 0
	s_and_not1_b32 vcc_lo, exec_lo, s29
	s_cbranch_vccnz .LBB5_52
; %bb.45:                               ;   in Loop: Header=BB5_9 Depth=1
	s_and_not1_b32 vcc_lo, exec_lo, s31
	s_mov_b32 s0, 0
	s_cbranch_vccnz .LBB5_49
; %bb.46:                               ;   in Loop: Header=BB5_9 Depth=1
	v_mov_b32_e32 v5, 0
	s_mov_b32 s39, 0
	s_mov_b64 s[0:1], s[20:21]
	s_mov_b64 s[2:3], s[24:25]
.LBB5_47:                               ;   Parent Loop BB5_9 Depth=1
                                        ; =>  This Inner Loop Header: Depth=2
	s_clause 0x1
	s_load_b256 s[40:47], s[0:1], 0x4
	s_load_b128 s[48:51], s[0:1], 0x24
	s_load_b128 s[52:55], s[2:3], 0x0
	s_add_u32 s0, s0, 48
	s_addc_u32 s1, s1, 0
	s_add_i32 s39, s39, 4
	s_add_u32 s2, s2, 16
	s_addc_u32 s3, s3, 0
	s_cmp_eq_u32 s33, s39
	s_waitcnt lgkmcnt(0)
	v_mul_hi_u32 v0, s41, v15
	s_delay_alu instid0(VALU_DEP_1) | instskip(NEXT) | instid1(VALU_DEP_1)
	v_add_nc_u32_e32 v0, v15, v0
	v_lshrrev_b32_e32 v0, s42, v0
	s_delay_alu instid0(VALU_DEP_1) | instskip(SKIP_1) | instid1(VALU_DEP_2)
	v_mul_hi_u32 v6, s44, v0
	v_mul_lo_u32 v40, v0, s40
	v_add_nc_u32_e32 v6, v0, v6
	s_delay_alu instid0(VALU_DEP_2) | instskip(NEXT) | instid1(VALU_DEP_2)
	v_sub_nc_u32_e32 v40, v15, v40
	v_lshrrev_b32_e32 v6, s45, v6
	s_delay_alu instid0(VALU_DEP_2) | instskip(NEXT) | instid1(VALU_DEP_2)
	v_mul_lo_u32 v40, v40, s52
	v_mul_hi_u32 v9, s47, v6
	v_mul_lo_u32 v41, v6, s43
	s_delay_alu instid0(VALU_DEP_2) | instskip(NEXT) | instid1(VALU_DEP_2)
	v_add_nc_u32_e32 v9, v6, v9
	v_sub_nc_u32_e32 v0, v0, v41
	s_delay_alu instid0(VALU_DEP_2) | instskip(NEXT) | instid1(VALU_DEP_2)
	v_lshrrev_b32_e32 v9, s48, v9
	v_mul_lo_u32 v0, v0, s53
	s_delay_alu instid0(VALU_DEP_2) | instskip(NEXT) | instid1(VALU_DEP_2)
	v_mul_hi_u32 v16, s50, v9
	v_add3_u32 v0, v40, v5, v0
	s_delay_alu instid0(VALU_DEP_2) | instskip(NEXT) | instid1(VALU_DEP_1)
	v_add_nc_u32_e32 v16, v9, v16
	v_lshrrev_b32_e32 v15, s51, v16
	v_mul_lo_u32 v16, v9, s46
	s_delay_alu instid0(VALU_DEP_2) | instskip(NEXT) | instid1(VALU_DEP_2)
	v_mul_lo_u32 v42, v15, s49
	v_sub_nc_u32_e32 v6, v6, v16
	s_delay_alu instid0(VALU_DEP_2) | instskip(NEXT) | instid1(VALU_DEP_2)
	v_sub_nc_u32_e32 v9, v9, v42
	v_mul_lo_u32 v6, v6, s54
	s_delay_alu instid0(VALU_DEP_2) | instskip(NEXT) | instid1(VALU_DEP_1)
	v_mul_lo_u32 v9, v9, s55
	v_add3_u32 v5, v6, v0, v9
	s_cbranch_scc0 .LBB5_47
; %bb.48:                               ;   in Loop: Header=BB5_9 Depth=1
	s_mov_b32 s0, s33
.LBB5_49:                               ;   in Loop: Header=BB5_9 Depth=1
	s_and_not1_b32 vcc_lo, exec_lo, s34
	s_cbranch_vccnz .LBB5_52
; %bb.50:                               ;   in Loop: Header=BB5_9 Depth=1
	s_lshl_b32 s1, s0, 2
	s_mul_i32 s2, s0, 12
	s_add_u32 s0, s24, s1
	s_addc_u32 s1, s25, 0
	s_add_u32 s2, s20, s2
	s_addc_u32 s3, s21, 0
	s_mov_b32 s39, s30
	.p2align	6
.LBB5_51:                               ;   Parent Loop BB5_9 Depth=1
                                        ; =>  This Inner Loop Header: Depth=2
	s_clause 0x1
	s_load_b64 s[40:41], s[2:3], 0x4
	s_load_b32 s42, s[2:3], 0xc
	s_add_u32 s2, s2, 12
	s_addc_u32 s3, s3, 0
	s_waitcnt lgkmcnt(0)
	v_mul_hi_u32 v0, s41, v15
	s_load_b32 s41, s[0:1], 0x0
	s_add_u32 s0, s0, 4
	s_addc_u32 s1, s1, 0
	s_add_i32 s39, s39, -1
	s_delay_alu instid0(SALU_CYCLE_1) | instskip(NEXT) | instid1(VALU_DEP_1)
	s_cmp_eq_u32 s39, 0
	v_add_nc_u32_e32 v0, v15, v0
	s_delay_alu instid0(VALU_DEP_1) | instskip(NEXT) | instid1(VALU_DEP_1)
	v_lshrrev_b32_e32 v0, s42, v0
	v_mul_lo_u32 v6, v0, s40
	s_delay_alu instid0(VALU_DEP_1) | instskip(SKIP_2) | instid1(VALU_DEP_2)
	v_sub_nc_u32_e32 v6, v15, v6
	v_mov_b32_e32 v15, v0
	s_waitcnt lgkmcnt(0)
	v_mad_u64_u32 v[40:41], null, v6, s41, v[5:6]
	s_delay_alu instid0(VALU_DEP_1)
	v_mov_b32_e32 v5, v40
	s_cbranch_scc0 .LBB5_51
.LBB5_52:                               ;   in Loop: Header=BB5_9 Depth=1
	v_lshrrev_b32_e32 v0, 11, v8
	v_cvt_f64_u32_e32 v[6:7], v7
	s_mov_b32 s1, exec_lo
	s_delay_alu instid0(VALU_DEP_2) | instskip(NEXT) | instid1(VALU_DEP_1)
	v_cvt_f64_u32_e32 v[8:9], v0
	v_ldexp_f64 v[8:9], v[8:9], 32
	s_delay_alu instid0(VALU_DEP_1) | instskip(NEXT) | instid1(VALU_DEP_1)
	v_add_f64 v[6:7], v[8:9], v[6:7]
                                        ; implicit-def: $vgpr8
	v_fma_f64 v[6:7], 0x3ca00000, v[6:7], 0x3ca00000
	s_delay_alu instid0(VALU_DEP_1) | instskip(NEXT) | instid1(VALU_DEP_1)
	v_cvt_f32_f64_e32 v0, v[6:7]
	v_cmp_nlt_f32_e32 vcc_lo, 0x3f7ffffe, v0
	v_cndmask_b32_e32 v0, 0x3f7ffffe, v0, vcc_lo
	s_delay_alu instid0(VALU_DEP_1) | instskip(SKIP_1) | instid1(VALU_DEP_1)
	v_cmp_ngt_f32_e32 vcc_lo, 0x34000000, v0
	v_cndmask_b32_e32 v0, 0x34000000, v0, vcc_lo
	v_add_f32_e32 v0, -0.5, v0
	s_delay_alu instid0(VALU_DEP_1) | instskip(NEXT) | instid1(VALU_DEP_1)
	v_mul_f32_e32 v6, 0x40490fdb, v0
                                        ; implicit-def: $vgpr0
	v_and_b32_e32 v7, 0x7fffffff, v6
	v_cmpx_ngt_f32_e64 0x48000000, |v6|
	s_xor_b32 s3, exec_lo, s1
	s_cbranch_execz .LBB5_54
; %bb.53:                               ;   in Loop: Header=BB5_9 Depth=1
	s_delay_alu instid0(VALU_DEP_2) | instskip(NEXT) | instid1(VALU_DEP_1)
	v_and_or_b32 v46, v7, s35, 0x800000
	v_mad_u64_u32 v[8:9], null, 0xfe5163ab, v46, 0
	s_delay_alu instid0(VALU_DEP_1) | instskip(SKIP_1) | instid1(VALU_DEP_1)
	v_mov_b32_e32 v0, v9
	v_lshrrev_b32_e32 v9, 23, v7
	v_add_nc_u32_e32 v9, 0xffffff88, v9
	s_delay_alu instid0(VALU_DEP_3) | instskip(NEXT) | instid1(VALU_DEP_2)
	v_mad_u64_u32 v[15:16], null, 0x3c439041, v46, v[0:1]
	v_cmp_lt_u32_e32 vcc_lo, 63, v9
	s_delay_alu instid0(VALU_DEP_2) | instskip(SKIP_1) | instid1(VALU_DEP_2)
	v_mov_b32_e32 v0, v16
	v_cndmask_b32_e64 v16, 0, 0xffffffc0, vcc_lo
	v_mad_u64_u32 v[40:41], null, 0xdb629599, v46, v[0:1]
	s_delay_alu instid0(VALU_DEP_2) | instskip(NEXT) | instid1(VALU_DEP_1)
	v_add_nc_u32_e32 v9, v16, v9
	v_cmp_lt_u32_e64 s0, 31, v9
	s_delay_alu instid0(VALU_DEP_3) | instskip(NEXT) | instid1(VALU_DEP_4)
	v_mov_b32_e32 v0, v41
	v_cndmask_b32_e32 v8, v40, v8, vcc_lo
	s_delay_alu instid0(VALU_DEP_3) | instskip(NEXT) | instid1(VALU_DEP_3)
	v_cndmask_b32_e64 v16, 0, 0xffffffe0, s0
	v_mad_u64_u32 v[41:42], null, 0xf534ddc0, v46, v[0:1]
	s_delay_alu instid0(VALU_DEP_1) | instskip(NEXT) | instid1(VALU_DEP_1)
	v_dual_mov_b32 v0, v42 :: v_dual_add_nc_u32 v9, v16, v9
	v_cmp_lt_u32_e64 s1, 31, v9
	s_delay_alu instid0(VALU_DEP_2) | instskip(NEXT) | instid1(VALU_DEP_1)
	v_mad_u64_u32 v[42:43], null, 0xfc2757d1, v46, v[0:1]
	v_mov_b32_e32 v0, v43
	s_delay_alu instid0(VALU_DEP_1) | instskip(NEXT) | instid1(VALU_DEP_1)
	v_mad_u64_u32 v[43:44], null, 0x4e441529, v46, v[0:1]
	v_mov_b32_e32 v0, v44
	s_delay_alu instid0(VALU_DEP_2) | instskip(NEXT) | instid1(VALU_DEP_2)
	v_cndmask_b32_e32 v16, v43, v41, vcc_lo
	v_mad_u64_u32 v[44:45], null, 0xa2f9836e, v46, v[0:1]
	v_cndmask_b32_e64 v0, 0, 0xffffffe0, s1
	s_delay_alu instid0(VALU_DEP_1) | instskip(NEXT) | instid1(VALU_DEP_3)
	v_add_nc_u32_e32 v0, v0, v9
	v_dual_cndmask_b32 v44, v44, v42 :: v_dual_cndmask_b32 v43, v45, v43
	v_dual_cndmask_b32 v42, v42, v40 :: v_dual_cndmask_b32 v9, v41, v15
	s_delay_alu instid0(VALU_DEP_3) | instskip(NEXT) | instid1(VALU_DEP_3)
	v_cmp_eq_u32_e64 s2, 0, v0
	v_cndmask_b32_e64 v15, v44, v16, s0
	s_delay_alu instid0(VALU_DEP_4) | instskip(NEXT) | instid1(VALU_DEP_4)
	v_cndmask_b32_e64 v41, v43, v44, s0
	v_cndmask_b32_e64 v16, v16, v42, s0
	v_sub_nc_u32_e32 v43, 32, v0
	v_cndmask_b32_e64 v42, v42, v9, s0
	v_cndmask_b32_e64 v8, v9, v8, s0
	;; [unrolled: 1-line block ×4, first 2 shown]
	s_delay_alu instid0(VALU_DEP_4) | instskip(NEXT) | instid1(VALU_DEP_4)
	v_cndmask_b32_e64 v16, v16, v42, s1
	v_cndmask_b32_e64 v8, v42, v8, s1
	s_delay_alu instid0(VALU_DEP_3) | instskip(NEXT) | instid1(VALU_DEP_3)
	v_alignbit_b32 v44, v41, v15, v43
	v_alignbit_b32 v45, v15, v16, v43
	s_delay_alu instid0(VALU_DEP_3) | instskip(NEXT) | instid1(VALU_DEP_3)
	v_alignbit_b32 v43, v16, v8, v43
	v_cndmask_b32_e64 v0, v44, v41, s2
	s_delay_alu instid0(VALU_DEP_3) | instskip(NEXT) | instid1(VALU_DEP_3)
	v_cndmask_b32_e64 v15, v45, v15, s2
	v_cndmask_b32_e64 v16, v43, v16, s2
	s_delay_alu instid0(VALU_DEP_3) | instskip(NEXT) | instid1(VALU_DEP_3)
	v_bfe_u32 v40, v0, 29, 1
	v_alignbit_b32 v9, v0, v15, 30
	s_delay_alu instid0(VALU_DEP_3) | instskip(SKIP_1) | instid1(VALU_DEP_4)
	v_alignbit_b32 v15, v15, v16, 30
	v_alignbit_b32 v8, v16, v8, 30
	v_sub_nc_u32_e32 v41, 0, v40
	s_delay_alu instid0(VALU_DEP_1) | instskip(SKIP_3) | instid1(VALU_DEP_4)
	v_xor_b32_e32 v42, v9, v41
	v_cmp_ne_u32_e32 vcc_lo, v9, v41
	v_xor_b32_e32 v15, v15, v41
	v_xor_b32_e32 v8, v8, v41
	v_clz_i32_u32_e32 v44, v42
	s_delay_alu instid0(VALU_DEP_1) | instskip(NEXT) | instid1(VALU_DEP_1)
	v_add_nc_u32_e32 v43, 1, v44
	v_cndmask_b32_e32 v9, 33, v43, vcc_lo
	s_delay_alu instid0(VALU_DEP_1) | instskip(NEXT) | instid1(VALU_DEP_1)
	v_sub_nc_u32_e32 v16, 32, v9
	v_alignbit_b32 v41, v42, v15, v16
	v_alignbit_b32 v8, v15, v8, v16
	v_lshrrev_b32_e32 v15, 29, v0
	s_delay_alu instid0(VALU_DEP_2) | instskip(NEXT) | instid1(VALU_DEP_2)
	v_alignbit_b32 v16, v41, v8, 9
	v_lshlrev_b32_e32 v15, 31, v15
	v_alignbit_b32 v41, v9, v41, 9
	s_delay_alu instid0(VALU_DEP_3) | instskip(NEXT) | instid1(VALU_DEP_2)
	v_clz_i32_u32_e32 v42, v16
	v_or_b32_e32 v41, v41, v15
	v_or_b32_e32 v15, 0x33800000, v15
	s_delay_alu instid0(VALU_DEP_3) | instskip(NEXT) | instid1(VALU_DEP_3)
	v_min_u32_e32 v42, 32, v42
	v_xor_b32_e32 v41, 1.0, v41
	s_delay_alu instid0(VALU_DEP_2) | instskip(SKIP_1) | instid1(VALU_DEP_3)
	v_sub_nc_u32_e32 v43, 31, v42
	v_add_lshl_u32 v9, v42, v9, 23
	v_mul_f32_e32 v42, 0x3fc90fda, v41
	s_delay_alu instid0(VALU_DEP_3) | instskip(NEXT) | instid1(VALU_DEP_3)
	v_alignbit_b32 v8, v16, v8, v43
	v_sub_nc_u32_e32 v9, v15, v9
	s_delay_alu instid0(VALU_DEP_3) | instskip(NEXT) | instid1(VALU_DEP_3)
	v_fma_f32 v15, 0x3fc90fda, v41, -v42
	v_lshrrev_b32_e32 v8, 9, v8
	s_delay_alu instid0(VALU_DEP_2) | instskip(NEXT) | instid1(VALU_DEP_2)
	v_fmac_f32_e32 v15, 0x33a22168, v41
	v_or_b32_e32 v8, v9, v8
	s_delay_alu instid0(VALU_DEP_1) | instskip(SKIP_1) | instid1(VALU_DEP_2)
	v_fmac_f32_e32 v15, 0x3fc90fda, v8
	v_lshrrev_b32_e32 v8, 30, v0
	v_add_f32_e32 v0, v42, v15
	s_delay_alu instid0(VALU_DEP_2)
	v_add_nc_u32_e32 v8, v40, v8
.LBB5_54:                               ;   in Loop: Header=BB5_9 Depth=1
	s_and_not1_saveexec_b32 s0, s3
	s_cbranch_execz .LBB5_7
; %bb.55:                               ;   in Loop: Header=BB5_9 Depth=1
	v_mul_f32_e64 v0, 0x3f22f983, |v6|
	s_delay_alu instid0(VALU_DEP_1) | instskip(NEXT) | instid1(VALU_DEP_1)
	v_rndne_f32_e32 v8, v0
	v_fma_f32 v0, 0xbfc90fda, v8, |v6|
	s_delay_alu instid0(VALU_DEP_1) | instskip(NEXT) | instid1(VALU_DEP_1)
	v_fmac_f32_e32 v0, 0xb3a22168, v8
	v_fmac_f32_e32 v0, 0xa7c234c4, v8
	v_cvt_i32_f32_e32 v8, v8
	s_branch .LBB5_7
.LBB5_56:
	s_endpgm
.LBB5_57:
                                        ; implicit-def: $sgpr2_sgpr3
	s_branch .LBB5_4
	.section	.rodata,"a",@progbits
	.p2align	6, 0x0
	.amdhsa_kernel _ZN2at6native12_GLOBAL__N_143distribution_elementwise_grid_stride_kernelIfLi4EZNS0_9templates4cuda21uniform_and_transformIffPNS_17CUDAGeneratorImplEZZZNS4_13cauchy_kernelIS7_EEvRNS_18TensorIteratorBaseEddT_ENKUlvE_clEvENKUlvE0_clEvEUlfE_EEvSA_T1_T2_EUlP25hiprandStatePhilox4_32_10E_ZNS1_27distribution_nullary_kernelIff15HIP_vector_typeIdLj2EES7_SJ_SE_EEvSA_SG_RKT3_T4_EUlifE0_EEvlNS_15PhiloxCudaStateESF_SG_
		.amdhsa_group_segment_fixed_size 0
		.amdhsa_private_segment_fixed_size 0
		.amdhsa_kernarg_size 584
		.amdhsa_user_sgpr_count 15
		.amdhsa_user_sgpr_dispatch_ptr 0
		.amdhsa_user_sgpr_queue_ptr 0
		.amdhsa_user_sgpr_kernarg_segment_ptr 1
		.amdhsa_user_sgpr_dispatch_id 0
		.amdhsa_user_sgpr_private_segment_size 0
		.amdhsa_wavefront_size32 1
		.amdhsa_uses_dynamic_stack 0
		.amdhsa_enable_private_segment 0
		.amdhsa_system_sgpr_workgroup_id_x 1
		.amdhsa_system_sgpr_workgroup_id_y 0
		.amdhsa_system_sgpr_workgroup_id_z 0
		.amdhsa_system_sgpr_workgroup_info 0
		.amdhsa_system_vgpr_workitem_id 0
		.amdhsa_next_free_vgpr 48
		.amdhsa_next_free_sgpr 56
		.amdhsa_reserve_vcc 1
		.amdhsa_float_round_mode_32 0
		.amdhsa_float_round_mode_16_64 0
		.amdhsa_float_denorm_mode_32 3
		.amdhsa_float_denorm_mode_16_64 3
		.amdhsa_dx10_clamp 1
		.amdhsa_ieee_mode 1
		.amdhsa_fp16_overflow 0
		.amdhsa_workgroup_processor_mode 1
		.amdhsa_memory_ordered 1
		.amdhsa_forward_progress 0
		.amdhsa_shared_vgpr_count 0
		.amdhsa_exception_fp_ieee_invalid_op 0
		.amdhsa_exception_fp_denorm_src 0
		.amdhsa_exception_fp_ieee_div_zero 0
		.amdhsa_exception_fp_ieee_overflow 0
		.amdhsa_exception_fp_ieee_underflow 0
		.amdhsa_exception_fp_ieee_inexact 0
		.amdhsa_exception_int_div_zero 0
	.end_amdhsa_kernel
	.section	.text._ZN2at6native12_GLOBAL__N_143distribution_elementwise_grid_stride_kernelIfLi4EZNS0_9templates4cuda21uniform_and_transformIffPNS_17CUDAGeneratorImplEZZZNS4_13cauchy_kernelIS7_EEvRNS_18TensorIteratorBaseEddT_ENKUlvE_clEvENKUlvE0_clEvEUlfE_EEvSA_T1_T2_EUlP25hiprandStatePhilox4_32_10E_ZNS1_27distribution_nullary_kernelIff15HIP_vector_typeIdLj2EES7_SJ_SE_EEvSA_SG_RKT3_T4_EUlifE0_EEvlNS_15PhiloxCudaStateESF_SG_,"axG",@progbits,_ZN2at6native12_GLOBAL__N_143distribution_elementwise_grid_stride_kernelIfLi4EZNS0_9templates4cuda21uniform_and_transformIffPNS_17CUDAGeneratorImplEZZZNS4_13cauchy_kernelIS7_EEvRNS_18TensorIteratorBaseEddT_ENKUlvE_clEvENKUlvE0_clEvEUlfE_EEvSA_T1_T2_EUlP25hiprandStatePhilox4_32_10E_ZNS1_27distribution_nullary_kernelIff15HIP_vector_typeIdLj2EES7_SJ_SE_EEvSA_SG_RKT3_T4_EUlifE0_EEvlNS_15PhiloxCudaStateESF_SG_,comdat
.Lfunc_end5:
	.size	_ZN2at6native12_GLOBAL__N_143distribution_elementwise_grid_stride_kernelIfLi4EZNS0_9templates4cuda21uniform_and_transformIffPNS_17CUDAGeneratorImplEZZZNS4_13cauchy_kernelIS7_EEvRNS_18TensorIteratorBaseEddT_ENKUlvE_clEvENKUlvE0_clEvEUlfE_EEvSA_T1_T2_EUlP25hiprandStatePhilox4_32_10E_ZNS1_27distribution_nullary_kernelIff15HIP_vector_typeIdLj2EES7_SJ_SE_EEvSA_SG_RKT3_T4_EUlifE0_EEvlNS_15PhiloxCudaStateESF_SG_, .Lfunc_end5-_ZN2at6native12_GLOBAL__N_143distribution_elementwise_grid_stride_kernelIfLi4EZNS0_9templates4cuda21uniform_and_transformIffPNS_17CUDAGeneratorImplEZZZNS4_13cauchy_kernelIS7_EEvRNS_18TensorIteratorBaseEddT_ENKUlvE_clEvENKUlvE0_clEvEUlfE_EEvSA_T1_T2_EUlP25hiprandStatePhilox4_32_10E_ZNS1_27distribution_nullary_kernelIff15HIP_vector_typeIdLj2EES7_SJ_SE_EEvSA_SG_RKT3_T4_EUlifE0_EEvlNS_15PhiloxCudaStateESF_SG_
                                        ; -- End function
	.section	.AMDGPU.csdata,"",@progbits
; Kernel info:
; codeLenInByte = 5992
; NumSgprs: 58
; NumVgprs: 48
; ScratchSize: 0
; MemoryBound: 0
; FloatMode: 240
; IeeeMode: 1
; LDSByteSize: 0 bytes/workgroup (compile time only)
; SGPRBlocks: 7
; VGPRBlocks: 5
; NumSGPRsForWavesPerEU: 58
; NumVGPRsForWavesPerEU: 48
; Occupancy: 16
; WaveLimiterHint : 1
; COMPUTE_PGM_RSRC2:SCRATCH_EN: 0
; COMPUTE_PGM_RSRC2:USER_SGPR: 15
; COMPUTE_PGM_RSRC2:TRAP_HANDLER: 0
; COMPUTE_PGM_RSRC2:TGID_X_EN: 1
; COMPUTE_PGM_RSRC2:TGID_Y_EN: 0
; COMPUTE_PGM_RSRC2:TGID_Z_EN: 0
; COMPUTE_PGM_RSRC2:TIDIG_COMP_CNT: 0
	.section	.text._ZN2at6native12_GLOBAL__N_143distribution_elementwise_grid_stride_kernelIfLi4EZNS0_9templates4cuda21uniform_and_transformIffPNS_17CUDAGeneratorImplEZZZNS4_13cauchy_kernelIS7_EEvRNS_18TensorIteratorBaseEddT_ENKUlvE_clEvENKUlvE0_clEvEUlfE_EEvSA_T1_T2_EUlP25hiprandStatePhilox4_32_10E0_ZNS1_27distribution_nullary_kernelIff15HIP_vector_typeIfLj4EES7_SJ_SE_EEvSA_SG_RKT3_T4_EUlifE_EEvlNS_15PhiloxCudaStateESF_SG_,"axG",@progbits,_ZN2at6native12_GLOBAL__N_143distribution_elementwise_grid_stride_kernelIfLi4EZNS0_9templates4cuda21uniform_and_transformIffPNS_17CUDAGeneratorImplEZZZNS4_13cauchy_kernelIS7_EEvRNS_18TensorIteratorBaseEddT_ENKUlvE_clEvENKUlvE0_clEvEUlfE_EEvSA_T1_T2_EUlP25hiprandStatePhilox4_32_10E0_ZNS1_27distribution_nullary_kernelIff15HIP_vector_typeIfLj4EES7_SJ_SE_EEvSA_SG_RKT3_T4_EUlifE_EEvlNS_15PhiloxCudaStateESF_SG_,comdat
	.globl	_ZN2at6native12_GLOBAL__N_143distribution_elementwise_grid_stride_kernelIfLi4EZNS0_9templates4cuda21uniform_and_transformIffPNS_17CUDAGeneratorImplEZZZNS4_13cauchy_kernelIS7_EEvRNS_18TensorIteratorBaseEddT_ENKUlvE_clEvENKUlvE0_clEvEUlfE_EEvSA_T1_T2_EUlP25hiprandStatePhilox4_32_10E0_ZNS1_27distribution_nullary_kernelIff15HIP_vector_typeIfLj4EES7_SJ_SE_EEvSA_SG_RKT3_T4_EUlifE_EEvlNS_15PhiloxCudaStateESF_SG_ ; -- Begin function _ZN2at6native12_GLOBAL__N_143distribution_elementwise_grid_stride_kernelIfLi4EZNS0_9templates4cuda21uniform_and_transformIffPNS_17CUDAGeneratorImplEZZZNS4_13cauchy_kernelIS7_EEvRNS_18TensorIteratorBaseEddT_ENKUlvE_clEvENKUlvE0_clEvEUlfE_EEvSA_T1_T2_EUlP25hiprandStatePhilox4_32_10E0_ZNS1_27distribution_nullary_kernelIff15HIP_vector_typeIfLj4EES7_SJ_SE_EEvSA_SG_RKT3_T4_EUlifE_EEvlNS_15PhiloxCudaStateESF_SG_
	.p2align	8
	.type	_ZN2at6native12_GLOBAL__N_143distribution_elementwise_grid_stride_kernelIfLi4EZNS0_9templates4cuda21uniform_and_transformIffPNS_17CUDAGeneratorImplEZZZNS4_13cauchy_kernelIS7_EEvRNS_18TensorIteratorBaseEddT_ENKUlvE_clEvENKUlvE0_clEvEUlfE_EEvSA_T1_T2_EUlP25hiprandStatePhilox4_32_10E0_ZNS1_27distribution_nullary_kernelIff15HIP_vector_typeIfLj4EES7_SJ_SE_EEvSA_SG_RKT3_T4_EUlifE_EEvlNS_15PhiloxCudaStateESF_SG_,@function
_ZN2at6native12_GLOBAL__N_143distribution_elementwise_grid_stride_kernelIfLi4EZNS0_9templates4cuda21uniform_and_transformIffPNS_17CUDAGeneratorImplEZZZNS4_13cauchy_kernelIS7_EEvRNS_18TensorIteratorBaseEddT_ENKUlvE_clEvENKUlvE0_clEvEUlfE_EEvSA_T1_T2_EUlP25hiprandStatePhilox4_32_10E0_ZNS1_27distribution_nullary_kernelIff15HIP_vector_typeIfLj4EES7_SJ_SE_EEvSA_SG_RKT3_T4_EUlifE_EEvlNS_15PhiloxCudaStateESF_SG_: ; @_ZN2at6native12_GLOBAL__N_143distribution_elementwise_grid_stride_kernelIfLi4EZNS0_9templates4cuda21uniform_and_transformIffPNS_17CUDAGeneratorImplEZZZNS4_13cauchy_kernelIS7_EEvRNS_18TensorIteratorBaseEddT_ENKUlvE_clEvENKUlvE0_clEvEUlfE_EEvSA_T1_T2_EUlP25hiprandStatePhilox4_32_10E0_ZNS1_27distribution_nullary_kernelIff15HIP_vector_typeIfLj4EES7_SJ_SE_EEvSA_SG_RKT3_T4_EUlifE_EEvlNS_15PhiloxCudaStateESF_SG_
; %bb.0:
	s_clause 0x2
	s_load_b64 s[8:9], s[0:1], 0x10
	s_load_b128 s[4:7], s[0:1], 0x0
	s_load_b32 s2, s[0:1], 0x20
	s_waitcnt lgkmcnt(0)
	v_dual_mov_b32 v2, s8 :: v_dual_mov_b32 v3, s9
	v_dual_mov_b32 v11, s7 :: v_dual_mov_b32 v10, s6
	s_bitcmp0_b32 s2, 0
	s_mov_b32 s2, 0
	s_cbranch_scc1 .LBB6_2
; %bb.1:
	v_dual_mov_b32 v1, s8 :: v_dual_mov_b32 v2, s9
	v_dual_mov_b32 v4, s6 :: v_dual_mov_b32 v5, s7
	s_load_b64 s[6:7], s[0:1], 0x18
	flat_load_b64 v[2:3], v[1:2]
	flat_load_b64 v[10:11], v[4:5]
	s_waitcnt vmcnt(1) lgkmcnt(0)
	v_add_co_u32 v2, vcc_lo, v2, s6
	v_add_co_ci_u32_e32 v3, vcc_lo, s7, v3, vcc_lo
.LBB6_2:
	s_clause 0x1
	s_load_b32 s3, s[0:1], 0x54
	s_load_b32 s20, s[0:1], 0x48
	s_waitcnt lgkmcnt(0)
	s_and_b32 s19, s3, 0xffff
	s_add_u32 s6, s4, -1
	s_mul_i32 s14, s20, s19
	s_addc_u32 s3, s5, -1
	s_lshl_b32 s16, s14, 2
	s_cmp_lg_u64 s[2:3], 0
	s_cbranch_scc0 .LBB6_43
; %bb.3:
	v_cvt_f32_ubyte0_e32 v1, 0
	v_cvt_f32_u32_e32 v4, s16
	s_sub_u32 s8, 0, s16
	s_subb_u32 s9, 0, 0
	s_delay_alu instid0(VALU_DEP_1) | instskip(NEXT) | instid1(VALU_DEP_1)
	v_fmamk_f32 v1, v1, 0x4f800000, v4
	v_rcp_f32_e32 v1, v1
	s_waitcnt_depctr 0xfff
	v_mul_f32_e32 v1, 0x5f7ffffc, v1
	s_delay_alu instid0(VALU_DEP_1) | instskip(NEXT) | instid1(VALU_DEP_1)
	v_mul_f32_e32 v4, 0x2f800000, v1
	v_trunc_f32_e32 v4, v4
	s_delay_alu instid0(VALU_DEP_1) | instskip(SKIP_1) | instid1(VALU_DEP_2)
	v_fmamk_f32 v1, v4, 0xcf800000, v1
	v_cvt_u32_f32_e32 v4, v4
	v_cvt_u32_f32_e32 v1, v1
	s_delay_alu instid0(VALU_DEP_2) | instskip(NEXT) | instid1(VALU_DEP_2)
	v_readfirstlane_b32 s2, v4
	v_readfirstlane_b32 s7, v1
	s_delay_alu instid0(VALU_DEP_2) | instskip(NEXT) | instid1(VALU_DEP_1)
	s_mul_i32 s10, s8, s2
	s_mul_hi_u32 s12, s8, s7
	s_mul_i32 s11, s9, s7
	s_add_i32 s10, s12, s10
	s_mul_i32 s13, s8, s7
	s_add_i32 s10, s10, s11
	s_mul_hi_u32 s12, s7, s13
	s_mul_hi_u32 s17, s2, s13
	s_mul_i32 s11, s2, s13
	s_mul_hi_u32 s13, s7, s10
	s_mul_i32 s7, s7, s10
	s_mul_hi_u32 s18, s2, s10
	s_add_u32 s7, s12, s7
	s_addc_u32 s12, 0, s13
	s_add_u32 s7, s7, s11
	s_mul_i32 s10, s2, s10
	s_addc_u32 s7, s12, s17
	s_addc_u32 s11, s18, 0
	s_add_u32 s7, s7, s10
	s_addc_u32 s10, 0, s11
	v_add_co_u32 v1, s7, v1, s7
	s_delay_alu instid0(VALU_DEP_1) | instskip(SKIP_1) | instid1(VALU_DEP_1)
	s_cmp_lg_u32 s7, 0
	s_addc_u32 s2, s2, s10
	v_readfirstlane_b32 s7, v1
	s_mul_i32 s10, s8, s2
	s_delay_alu instid0(VALU_DEP_1)
	s_mul_hi_u32 s11, s8, s7
	s_mul_i32 s9, s9, s7
	s_add_i32 s10, s11, s10
	s_mul_i32 s8, s8, s7
	s_add_i32 s10, s10, s9
	s_mul_hi_u32 s11, s2, s8
	s_mul_i32 s12, s2, s8
	s_mul_hi_u32 s8, s7, s8
	s_mul_hi_u32 s13, s7, s10
	s_mul_i32 s7, s7, s10
	s_mul_hi_u32 s9, s2, s10
	s_add_u32 s7, s8, s7
	s_addc_u32 s8, 0, s13
	s_add_u32 s7, s7, s12
	s_mul_i32 s10, s2, s10
	s_addc_u32 s7, s8, s11
	s_addc_u32 s8, s9, 0
	s_add_u32 s7, s7, s10
	s_addc_u32 s8, 0, s8
	v_add_co_u32 v1, s7, v1, s7
	s_delay_alu instid0(VALU_DEP_1) | instskip(SKIP_2) | instid1(VALU_DEP_1)
	s_cmp_lg_u32 s7, 0
	s_addc_u32 s7, s2, s8
	s_ashr_i32 s8, s3, 31
	v_readfirstlane_b32 s10, v1
	s_add_u32 s2, s6, s8
	s_mov_b32 s9, s8
	s_addc_u32 s3, s3, s8
	s_delay_alu instid0(SALU_CYCLE_1) | instskip(NEXT) | instid1(SALU_CYCLE_1)
	s_xor_b64 s[2:3], s[2:3], s[8:9]
	s_mul_i32 s12, s2, s7
	s_mul_hi_u32 s13, s2, s10
	s_mul_hi_u32 s11, s2, s7
	;; [unrolled: 1-line block ×3, first 2 shown]
	s_mul_i32 s10, s3, s10
	s_add_u32 s12, s13, s12
	s_addc_u32 s11, 0, s11
	s_mul_hi_u32 s17, s3, s7
	s_add_u32 s10, s12, s10
	s_mul_i32 s7, s3, s7
	s_addc_u32 s10, s11, s18
	s_addc_u32 s11, s17, 0
	s_add_u32 s7, s10, s7
	s_addc_u32 s10, 0, s11
	s_mul_i32 s12, s16, s7
	s_add_u32 s11, s7, 1
	v_sub_co_u32 v1, s2, s2, s12
	s_mul_hi_u32 s12, s16, s7
	s_addc_u32 s13, s10, 0
	s_mul_i32 s17, s16, s10
	s_delay_alu instid0(VALU_DEP_1)
	v_sub_co_u32 v4, s18, v1, s16
	s_add_u32 s21, s7, 2
	s_addc_u32 s22, s10, 0
	s_add_i32 s12, s12, s17
	s_cmp_lg_u32 s2, 0
	v_readfirstlane_b32 s2, v4
	s_subb_u32 s3, s3, s12
	s_cmp_lg_u32 s18, 0
	s_subb_u32 s12, s3, 0
	s_delay_alu instid0(VALU_DEP_1) | instskip(SKIP_4) | instid1(SALU_CYCLE_1)
	s_cmp_ge_u32 s2, s16
	s_cselect_b32 s2, -1, 0
	s_cmp_eq_u32 s12, 0
	v_readfirstlane_b32 s12, v1
	s_cselect_b32 s2, s2, -1
	s_cmp_lg_u32 s2, 0
	s_cselect_b32 s2, s21, s11
	s_cselect_b32 s11, s22, s13
	s_cmp_ge_u32 s12, s16
	s_cselect_b32 s12, -1, 0
	s_cmp_eq_u32 s3, 0
	s_cselect_b32 s3, s12, -1
	s_delay_alu instid0(SALU_CYCLE_1) | instskip(SKIP_2) | instid1(SALU_CYCLE_1)
	s_cmp_lg_u32 s3, 0
	s_cselect_b32 s3, s11, s10
	s_cselect_b32 s2, s2, s7
	s_xor_b64 s[2:3], s[2:3], s[8:9]
	s_delay_alu instid0(SALU_CYCLE_1)
	s_sub_u32 s2, s2, s8
	s_subb_u32 s3, s3, s8
	s_cbranch_execnz .LBB6_5
.LBB6_4:
	v_cvt_f32_u32_e32 v1, s16
	s_sub_i32 s3, 0, s16
	s_delay_alu instid0(VALU_DEP_1) | instskip(SKIP_2) | instid1(VALU_DEP_1)
	v_rcp_iflag_f32_e32 v1, v1
	s_waitcnt_depctr 0xfff
	v_mul_f32_e32 v1, 0x4f7ffffe, v1
	v_cvt_u32_f32_e32 v1, v1
	s_delay_alu instid0(VALU_DEP_1) | instskip(NEXT) | instid1(VALU_DEP_1)
	v_readfirstlane_b32 s2, v1
	s_mul_i32 s3, s3, s2
	s_delay_alu instid0(SALU_CYCLE_1) | instskip(NEXT) | instid1(SALU_CYCLE_1)
	s_mul_hi_u32 s3, s2, s3
	s_add_i32 s2, s2, s3
	s_delay_alu instid0(SALU_CYCLE_1) | instskip(NEXT) | instid1(SALU_CYCLE_1)
	s_mul_hi_u32 s2, s6, s2
	s_mul_i32 s3, s2, s16
	s_delay_alu instid0(SALU_CYCLE_1)
	s_sub_i32 s3, s6, s3
	s_add_i32 s6, s2, 1
	s_sub_i32 s7, s3, s16
	s_cmp_ge_u32 s3, s16
	s_cselect_b32 s2, s6, s2
	s_cselect_b32 s3, s7, s3
	s_add_i32 s6, s2, 1
	s_cmp_ge_u32 s3, s16
	s_mov_b32 s3, 0
	s_cselect_b32 s2, s6, s2
.LBB6_5:
	v_mov_b32_e32 v1, 0
	s_add_u32 s2, s2, 1
	s_addc_u32 s3, s3, 0
	s_mul_hi_u32 s6, s14, s2
	s_mul_i32 s3, s14, s3
	v_mad_u64_u32 v[12:13], null, s19, s15, v[0:1]
	s_mul_hi_u32 s7, s20, s19
	s_add_i32 s3, s6, s3
	s_mul_i32 s7, s7, s2
	s_mul_i32 s2, s14, s2
	s_add_i32 s3, s3, s7
	s_delay_alu instid0(SALU_CYCLE_1)
	s_lshl_b64 s[6:7], s[2:3], 2
	s_mov_b32 s2, exec_lo
	v_cmpx_gt_i64_e64 s[6:7], v[12:13]
	s_cbranch_execz .LBB6_42
; %bb.6:
	v_alignbit_b32 v16, v3, v2, 2
	v_mad_u64_u32 v[4:5], null, 0xcd9e8d57, v12, 0
	v_lshrrev_b32_e32 v17, 2, v3
	s_waitcnt vmcnt(0)
	v_dual_mov_b32 v37, v11 :: v_dual_add_nc_u32 v28, 0x96a522ad, v11
	v_mad_u64_u32 v[6:7], null, 0xd2511f53, v16, 0
	v_add_co_u32 v19, null, 0x9e3779b9, v10
	v_xor3_b32 v3, v10, v5, v17
	s_delay_alu instid0(VALU_DEP_4) | instskip(SKIP_2) | instid1(VALU_DEP_4)
	v_add_co_u32 v18, null, 0xbb67ae85, v37
	v_add_co_u32 v20, null, 0x3c6ef372, v10
	v_xor_b32_e32 v5, v7, v11
	v_mad_u64_u32 v[7:8], null, 0xd2511f53, v3, 0
	v_add_co_u32 v21, null, 0x76cf5d0a, v37
	s_delay_alu instid0(VALU_DEP_3) | instskip(SKIP_2) | instid1(VALU_DEP_3)
	v_xor_b32_e32 v3, v5, v13
	v_add_co_u32 v22, null, 0x32370b8f, v37
	v_add_co_u32 v23, null, 0xdaa66d2b, v10
	v_mad_u64_u32 v[14:15], null, 0xcd9e8d57, v3, 0
	v_xor3_b32 v3, v18, v8, v6
	v_add_co_u32 v24, null, 0x78dde6e4, v10
	v_dual_mov_b32 v36, v12 :: v_dual_and_b32 v25, 3, v2
	s_delay_alu instid0(VALU_DEP_3) | instskip(SKIP_3) | instid1(VALU_DEP_3)
	v_mad_u64_u32 v[5:6], null, 0xcd9e8d57, v3, 0
	v_xor3_b32 v8, v19, v15, v4
	v_add_co_u32 v26, null, 0xed9eba14, v37
	v_add_co_u32 v29, null, 0xa9066899, v37
	v_mad_u64_u32 v[3:4], null, 0xd2511f53, v8, 0
	v_xor3_b32 v6, v20, v6, v14
	v_add_co_u32 v31, null, 0x1715609d, v10
	v_add_co_u32 v32, null, 0xb54cda56, v10
	s_delay_alu instid0(VALU_DEP_3) | instskip(SKIP_3) | instid1(VALU_DEP_3)
	v_mad_u64_u32 v[8:9], null, 0xd2511f53, v6, 0
	v_xor3_b32 v4, v21, v4, v7
	v_add_co_u32 v34, null, 0x646e171e, v37
	v_add_co_u32 v30, null, 0x5384540f, v10
	v_mad_u64_u32 v[6:7], null, 0xcd9e8d57, v4, 0
	v_xor3_b32 v9, v22, v9, v3
	v_add_co_u32 v35, null, 0x1fd5c5a3, v37
	s_clause 0x1
	s_load_b128 s[8:11], s[0:1], 0x38
	s_load_b64 s[12:13], s[0:1], 0x30
	v_add_co_u32 v33, null, 0xf1bbcdc8, v10
	v_mad_u64_u32 v[3:4], null, 0xcd9e8d57, v9, 0
	v_xor3_b32 v5, v23, v7, v5
	s_mul_i32 s0, s20, 3
	v_add_co_u32 v37, null, 0xdb3d7428, v37
	s_lshl_b32 s1, s20, 1
	s_delay_alu instid0(VALU_DEP_2) | instskip(NEXT) | instid1(VALU_DEP_4)
	v_mad_u64_u32 v[14:15], null, 0xd2511f53, v5, 0
	v_xor3_b32 v2, v24, v4, v6
	s_add_i32 s0, s15, s0
	s_add_i32 s2, s15, s20
	v_mad_u64_u32 v[39:40], null, s0, s19, v[0:1]
	s_delay_alu instid0(VALU_DEP_2) | instskip(NEXT) | instid1(VALU_DEP_4)
	v_mad_u64_u32 v[4:5], null, 0xd2511f53, v2, 0
	v_xor3_b32 v2, v26, v15, v8
	s_waitcnt lgkmcnt(0)
	s_mul_i32 s0, s20, s8
	s_mov_b32 s3, 0
	s_mul_i32 s0, s0, s19
	s_delay_alu instid0(VALU_DEP_3)
	v_mul_lo_u32 v39, s8, v39
	v_mad_u64_u32 v[6:7], null, 0xcd9e8d57, v2, 0
	v_xor3_b32 v2, v29, v5, v14
	s_lshl_b32 s11, s14, 1
	s_mul_i32 s17, s14, 3
	s_mov_b32 s18, 0x7fffff
	s_mov_b32 s20, 0
	v_mad_u64_u32 v[8:9], null, 0xcd9e8d57, v2, 0
	s_delay_alu instid0(VALU_DEP_3) | instskip(NEXT) | instid1(VALU_DEP_1)
	v_xor3_b32 v5, v31, v7, v3
	v_mad_u64_u32 v[2:3], null, 0xd2511f53, v5, 0
	s_delay_alu instid0(VALU_DEP_3) | instskip(SKIP_2) | instid1(SALU_CYCLE_1)
	v_xor3_b32 v7, v32, v9, v6
	v_mad_u64_u32 v[5:6], null, s15, s19, v[0:1]
	s_add_i32 s15, s15, s1
	v_mad_u64_u32 v[40:41], null, s15, s19, v[0:1]
	s_delay_alu instid0(VALU_DEP_4) | instskip(SKIP_1) | instid1(VALU_DEP_4)
	v_xor3_b32 v9, v34, v3, v4
	v_mad_u64_u32 v[3:4], null, 0xd2511f53, v7, 0
	v_mul_lo_u32 v38, s8, v5
	s_mov_b32 s15, 0xbc8cedd3
	s_delay_alu instid0(VALU_DEP_3) | instskip(SKIP_1) | instid1(VALU_DEP_4)
	v_mad_u64_u32 v[6:7], null, 0xcd9e8d57, v9, 0
	v_mul_lo_u32 v40, s8, v40
	v_xor3_b32 v2, v35, v4, v2
	s_delay_alu instid0(VALU_DEP_3) | instskip(NEXT) | instid1(VALU_DEP_2)
	v_xor3_b32 v4, v30, v7, v8
	v_mad_u64_u32 v[14:15], null, 0xcd9e8d57, v2, 0
	v_mad_u64_u32 v[8:9], null, s2, s19, v[0:1]
	s_delay_alu instid0(VALU_DEP_3) | instskip(SKIP_1) | instid1(VALU_DEP_3)
	v_mad_u64_u32 v[42:43], null, 0xd2511f53, v4, 0
	s_mov_b32 s19, 0x3c971480
	v_xor3_b32 v4, v33, v15, v6
	s_delay_alu instid0(VALU_DEP_3) | instskip(SKIP_1) | instid1(VALU_DEP_3)
	v_mul_lo_u32 v41, s8, v8
	s_lshl_b32 s8, s0, 2
	v_xor3_b32 v0, v37, v43, v3
	s_delay_alu instid0(VALU_DEP_3) | instskip(SKIP_1) | instid1(VALU_DEP_3)
	v_mad_u64_u32 v[2:3], null, 0xd2511f53, v4, 0
	v_add_nc_u32_e32 v27, 0x8ff34781, v10
	v_mad_u64_u32 v[6:7], null, 0xcd9e8d57, v0, 0
	s_delay_alu instid0(VALU_DEP_3) | instskip(NEXT) | instid1(VALU_DEP_2)
	v_mov_b32_e32 v8, v2
	v_xor3_b32 v5, v7, v14, v27
	v_xor3_b32 v7, v3, v42, v28
	v_mov_b32_e32 v42, v13
	s_branch .LBB6_9
.LBB6_7:                                ;   in Loop: Header=BB6_9 Depth=1
	s_or_b32 exec_lo, exec_lo, s0
	s_delay_alu instid0(VALU_DEP_1) | instskip(NEXT) | instid1(VALU_DEP_1)
	v_dual_mul_f32 v8, v0, v0 :: v_dual_and_b32 v7, 1, v7
	v_fmaak_f32 v9, s19, v8, 0xbf039337
	v_fmaak_f32 v15, s15, v8, 0x3ec54587
	s_delay_alu instid0(VALU_DEP_3) | instskip(SKIP_1) | instid1(VALU_DEP_4)
	v_cmp_eq_u32_e32 vcc_lo, 0, v7
	v_add_nc_u32_e32 v7, s20, v39
	v_fmaak_f32 v9, v8, v9, 0x3f93f425
	s_delay_alu instid0(VALU_DEP_1) | instskip(SKIP_2) | instid1(VALU_DEP_1)
	v_rcp_f32_e32 v9, v9
	s_waitcnt_depctr 0xfff
	v_mul_f32_e32 v9, v15, v9
	v_mul_f32_e32 v8, v8, v9
	s_delay_alu instid0(VALU_DEP_1) | instskip(NEXT) | instid1(VALU_DEP_1)
	v_fma_f32 v9, v8, v0, v0
	v_rcp_f32_e32 v15, v9
	v_sub_f32_e32 v43, v9, v0
	s_delay_alu instid0(VALU_DEP_1) | instskip(SKIP_2) | instid1(VALU_DEP_1)
	v_fma_f32 v0, v8, v0, -v43
	s_waitcnt_depctr 0xfff
	v_fma_f32 v8, v9, -v15, 1.0
	v_fma_f32 v0, v0, -v15, v8
	s_delay_alu instid0(VALU_DEP_1) | instskip(NEXT) | instid1(VALU_DEP_1)
	v_fma_f32 v0, v0, -v15, -v15
	v_cndmask_b32_e32 v0, v0, v9, vcc_lo
	v_cmp_class_f32_e64 vcc_lo, v5, 0x1f8
	s_delay_alu instid0(VALU_DEP_2) | instskip(SKIP_1) | instid1(VALU_DEP_2)
	v_xor3_b32 v0, v6, v5, v0
	v_ashrrev_i32_e32 v6, 31, v7
	v_cndmask_b32_e32 v0, 0x7fc00000, v0, vcc_lo
	v_add_co_u32 v5, vcc_lo, s12, v7
	s_delay_alu instid0(VALU_DEP_3) | instskip(NEXT) | instid1(VALU_DEP_3)
	v_add_co_ci_u32_e32 v6, vcc_lo, s13, v6, vcc_lo
	v_fma_f32 v0, s10, v0, s9
	global_store_b32 v[5:6], v0, off
.LBB6_8:                                ;   in Loop: Header=BB6_9 Depth=1
	s_or_b32 exec_lo, exec_lo, s21
	v_add_co_u32 v12, vcc_lo, v12, s16
	v_add_co_ci_u32_e32 v13, vcc_lo, 0, v13, vcc_lo
	v_mov_b32_e32 v5, v14
	s_add_i32 s20, s20, s8
	s_waitcnt_vscnt null, 0x0
	s_delay_alu instid0(VALU_DEP_2)
	v_cmp_le_i64_e32 vcc_lo, s[6:7], v[12:13]
	s_barrier
	v_mov_b32_e32 v8, v5
	v_dual_mov_b32 v7, v4 :: v_dual_mov_b32 v6, v3
	v_mov_b32_e32 v5, v2
	s_or_b32 s3, vcc_lo, s3
	buffer_gl0_inv
	s_and_not1_b32 exec_lo, exec_lo, s3
	s_cbranch_execz .LBB6_42
.LBB6_9:                                ; =>This Inner Loop Header: Depth=1
	v_add_co_u32 v16, vcc_lo, v16, 1
	s_delay_alu instid0(VALU_DEP_1) | instskip(SKIP_1) | instid1(VALU_DEP_3)
	v_cndmask_b32_e64 v0, 0, 1, vcc_lo
	v_add_co_ci_u32_e32 v17, vcc_lo, 0, v17, vcc_lo
	v_mad_u64_u32 v[2:3], null, 0xd2511f53, v16, 0
	s_mov_b32 s0, exec_lo
	s_delay_alu instid0(VALU_DEP_2) | instskip(SKIP_1) | instid1(VALU_DEP_1)
	v_cmp_eq_u32_e32 vcc_lo, 0, v17
	v_cndmask_b32_e32 v0, 0, v0, vcc_lo
	v_add_nc_u32_e32 v36, v0, v36
	s_delay_alu instid0(VALU_DEP_1) | instskip(SKIP_2) | instid1(VALU_DEP_2)
	v_cmp_eq_u32_e32 vcc_lo, 0, v36
	v_mad_u64_u32 v[14:15], null, 0xcd9e8d57, v36, 0
	v_cndmask_b32_e32 v0, 0, v0, vcc_lo
	v_xor3_b32 v9, v15, v10, v17
	s_delay_alu instid0(VALU_DEP_2) | instskip(SKIP_1) | instid1(VALU_DEP_3)
	v_add_nc_u32_e32 v42, v0, v42
	v_xor_b32_e32 v0, v3, v11
	v_mad_u64_u32 v[3:4], null, 0xd2511f53, v9, 0
	s_delay_alu instid0(VALU_DEP_2) | instskip(NEXT) | instid1(VALU_DEP_1)
	v_xor_b32_e32 v0, v42, v0
	v_mad_u64_u32 v[43:44], null, 0xcd9e8d57, v0, 0
	s_delay_alu instid0(VALU_DEP_3) | instskip(NEXT) | instid1(VALU_DEP_2)
	v_xor3_b32 v0, v18, v4, v2
	v_xor3_b32 v2, v19, v44, v14
	s_delay_alu instid0(VALU_DEP_2) | instskip(NEXT) | instid1(VALU_DEP_2)
	v_mad_u64_u32 v[14:15], null, 0xcd9e8d57, v0, 0
	v_mad_u64_u32 v[44:45], null, 0xd2511f53, v2, 0
	s_delay_alu instid0(VALU_DEP_2) | instskip(NEXT) | instid1(VALU_DEP_2)
	v_xor3_b32 v0, v20, v15, v43
	v_xor3_b32 v4, v21, v45, v3
	s_delay_alu instid0(VALU_DEP_2) | instskip(NEXT) | instid1(VALU_DEP_2)
	v_mad_u64_u32 v[2:3], null, 0xd2511f53, v0, 0
	v_mad_u64_u32 v[45:46], null, 0xcd9e8d57, v4, 0
	s_delay_alu instid0(VALU_DEP_2) | instskip(NEXT) | instid1(VALU_DEP_2)
	;; [unrolled: 6-line block ×8, first 2 shown]
	v_xor3_b32 v9, v15, v46, v28
	v_xor3_b32 v2, v4, v44, v27
	s_delay_alu instid0(VALU_DEP_2)
	v_mov_b32_e32 v4, v9
	v_cmpx_lt_i32_e32 1, v25
	s_xor_b32 s0, exec_lo, s0
	s_cbranch_execnz .LBB6_12
; %bb.10:                               ;   in Loop: Header=BB6_9 Depth=1
	s_and_not1_saveexec_b32 s0, s0
	s_cbranch_execnz .LBB6_17
.LBB6_11:                               ;   in Loop: Header=BB6_9 Depth=1
	s_or_b32 exec_lo, exec_lo, s0
	s_delay_alu instid0(SALU_CYCLE_1)
	s_mov_b32 s21, exec_lo
	v_cmpx_gt_i64_e64 s[4:5], v[12:13]
	s_cbranch_execnz .LBB6_20
	s_branch .LBB6_25
.LBB6_12:                               ;   in Loop: Header=BB6_9 Depth=1
	s_mov_b32 s1, exec_lo
	v_cmpx_lt_i32_e32 2, v25
	s_xor_b32 s1, exec_lo, s1
; %bb.13:                               ;   in Loop: Header=BB6_9 Depth=1
	v_dual_mov_b32 v6, v8 :: v_dual_mov_b32 v7, v2
	v_mov_b32_e32 v8, v3
	s_delay_alu instid0(VALU_DEP_2) | instskip(NEXT) | instid1(VALU_DEP_3)
	v_mov_b32_e32 v5, v6
	v_mov_b32_e32 v6, v7
	s_delay_alu instid0(VALU_DEP_3)
	v_mov_b32_e32 v7, v8
	v_mov_b32_e32 v8, v9
; %bb.14:                               ;   in Loop: Header=BB6_9 Depth=1
	s_and_not1_saveexec_b32 s1, s1
; %bb.15:                               ;   in Loop: Header=BB6_9 Depth=1
	s_delay_alu instid0(VALU_DEP_1)
	v_dual_mov_b32 v5, v7 :: v_dual_mov_b32 v6, v8
	v_dual_mov_b32 v7, v2 :: v_dual_mov_b32 v8, v3
; %bb.16:                               ;   in Loop: Header=BB6_9 Depth=1
	s_or_b32 exec_lo, exec_lo, s1
	s_and_not1_saveexec_b32 s0, s0
	s_cbranch_execz .LBB6_11
.LBB6_17:                               ;   in Loop: Header=BB6_9 Depth=1
	s_mov_b32 s1, exec_lo
	v_cmpx_eq_u32_e32 1, v25
; %bb.18:                               ;   in Loop: Header=BB6_9 Depth=1
	v_dual_mov_b32 v5, v6 :: v_dual_mov_b32 v6, v7
	v_dual_mov_b32 v7, v8 :: v_dual_mov_b32 v8, v2
; %bb.19:                               ;   in Loop: Header=BB6_9 Depth=1
	s_or_b32 exec_lo, exec_lo, s1
	s_delay_alu instid0(SALU_CYCLE_1) | instskip(NEXT) | instid1(SALU_CYCLE_1)
	s_or_b32 exec_lo, exec_lo, s0
	s_mov_b32 s21, exec_lo
	v_cmpx_gt_i64_e64 s[4:5], v[12:13]
	s_cbranch_execz .LBB6_25
.LBB6_20:                               ;   in Loop: Header=BB6_9 Depth=1
	v_cvt_f32_u32_e32 v0, v5
                                        ; implicit-def: $vgpr15
	s_mov_b32 s1, exec_lo
	s_delay_alu instid0(VALU_DEP_1) | instskip(NEXT) | instid1(VALU_DEP_1)
	v_fmaak_f32 v0, 0x2f800000, v0, 0x2f800000
	v_cmp_nlt_f32_e32 vcc_lo, 0x3f7ffffe, v0
	v_cndmask_b32_e32 v0, 0x3f7ffffe, v0, vcc_lo
	s_delay_alu instid0(VALU_DEP_1) | instskip(SKIP_1) | instid1(VALU_DEP_1)
	v_cmp_ngt_f32_e32 vcc_lo, 0x34000000, v0
	v_cndmask_b32_e32 v0, 0x34000000, v0, vcc_lo
	v_add_f32_e32 v0, -0.5, v0
	s_delay_alu instid0(VALU_DEP_1) | instskip(NEXT) | instid1(VALU_DEP_1)
	v_mul_f32_e32 v5, 0x40490fdb, v0
                                        ; implicit-def: $vgpr0
	v_and_b32_e32 v9, 0x7fffffff, v5
	v_cmpx_ngt_f32_e64 0x48000000, |v5|
	s_xor_b32 s22, exec_lo, s1
	s_cbranch_execz .LBB6_22
; %bb.21:                               ;   in Loop: Header=BB6_9 Depth=1
	s_delay_alu instid0(VALU_DEP_2) | instskip(SKIP_1) | instid1(VALU_DEP_2)
	v_and_or_b32 v15, v9, s18, 0x800000
	v_lshrrev_b32_e32 v48, 23, v9
	v_mad_u64_u32 v[43:44], null, 0xfe5163ab, v15, 0
	s_delay_alu instid0(VALU_DEP_2) | instskip(NEXT) | instid1(VALU_DEP_1)
	v_add_nc_u32_e32 v49, 0xffffff88, v48
	v_cmp_lt_u32_e32 vcc_lo, 63, v49
	s_delay_alu instid0(VALU_DEP_3) | instskip(SKIP_1) | instid1(VALU_DEP_2)
	v_mov_b32_e32 v0, v44
	v_cndmask_b32_e64 v50, 0, 0xffffffc0, vcc_lo
	v_mad_u64_u32 v[44:45], null, 0x3c439041, v15, v[0:1]
	s_delay_alu instid0(VALU_DEP_2) | instskip(NEXT) | instid1(VALU_DEP_1)
	v_add_nc_u32_e32 v50, v50, v49
	v_cmp_lt_u32_e64 s0, 31, v50
	s_delay_alu instid0(VALU_DEP_1) | instskip(NEXT) | instid1(VALU_DEP_1)
	v_cndmask_b32_e64 v51, 0, 0xffffffe0, s0
	v_dual_mov_b32 v0, v45 :: v_dual_add_nc_u32 v51, v51, v50
	s_delay_alu instid0(VALU_DEP_1) | instskip(NEXT) | instid1(VALU_DEP_2)
	v_mad_u64_u32 v[45:46], null, 0xdb629599, v15, v[0:1]
	v_cmp_lt_u32_e64 s1, 31, v51
	s_delay_alu instid0(VALU_DEP_2) | instskip(NEXT) | instid1(VALU_DEP_1)
	v_dual_mov_b32 v0, v46 :: v_dual_cndmask_b32 v43, v45, v43
	v_mad_u64_u32 v[46:47], null, 0xf534ddc0, v15, v[0:1]
	s_delay_alu instid0(VALU_DEP_1) | instskip(NEXT) | instid1(VALU_DEP_2)
	v_mov_b32_e32 v0, v47
	v_cndmask_b32_e32 v44, v46, v44, vcc_lo
	s_delay_alu instid0(VALU_DEP_2) | instskip(NEXT) | instid1(VALU_DEP_2)
	v_mad_u64_u32 v[47:48], null, 0xfc2757d1, v15, v[0:1]
	v_cndmask_b32_e64 v43, v44, v43, s0
	s_delay_alu instid0(VALU_DEP_2) | instskip(NEXT) | instid1(VALU_DEP_1)
	v_mov_b32_e32 v0, v48
	v_mad_u64_u32 v[48:49], null, 0x4e441529, v15, v[0:1]
	s_delay_alu instid0(VALU_DEP_1) | instskip(NEXT) | instid1(VALU_DEP_1)
	v_mov_b32_e32 v0, v49
	v_mad_u64_u32 v[49:50], null, 0xa2f9836e, v15, v[0:1]
	v_cndmask_b32_e64 v0, 0, 0xffffffe0, s1
	s_delay_alu instid0(VALU_DEP_4) | instskip(NEXT) | instid1(VALU_DEP_2)
	v_cndmask_b32_e32 v15, v48, v46, vcc_lo
	v_add_nc_u32_e32 v0, v0, v51
	s_delay_alu instid0(VALU_DEP_4) | instskip(SKIP_1) | instid1(VALU_DEP_3)
	v_dual_cndmask_b32 v49, v49, v47 :: v_dual_cndmask_b32 v48, v50, v48
	v_cndmask_b32_e32 v47, v47, v45, vcc_lo
	v_cmp_eq_u32_e64 s2, 0, v0
	s_delay_alu instid0(VALU_DEP_3) | instskip(NEXT) | instid1(VALU_DEP_4)
	v_cndmask_b32_e64 v46, v49, v15, s0
	v_cndmask_b32_e64 v48, v48, v49, s0
	s_delay_alu instid0(VALU_DEP_4) | instskip(SKIP_2) | instid1(VALU_DEP_4)
	v_cndmask_b32_e64 v15, v15, v47, s0
	v_sub_nc_u32_e32 v49, 32, v0
	v_cndmask_b32_e64 v47, v47, v44, s0
	v_cndmask_b32_e64 v48, v48, v46, s1
	s_delay_alu instid0(VALU_DEP_4) | instskip(NEXT) | instid1(VALU_DEP_3)
	v_cndmask_b32_e64 v46, v46, v15, s1
	v_cndmask_b32_e64 v15, v15, v47, s1
	;; [unrolled: 1-line block ×3, first 2 shown]
	s_delay_alu instid0(VALU_DEP_3) | instskip(NEXT) | instid1(VALU_DEP_3)
	v_alignbit_b32 v50, v48, v46, v49
	v_alignbit_b32 v51, v46, v15, v49
	s_delay_alu instid0(VALU_DEP_3) | instskip(NEXT) | instid1(VALU_DEP_3)
	v_alignbit_b32 v49, v15, v43, v49
	v_cndmask_b32_e64 v0, v50, v48, s2
	s_delay_alu instid0(VALU_DEP_3) | instskip(NEXT) | instid1(VALU_DEP_3)
	v_cndmask_b32_e64 v45, v51, v46, s2
	v_cndmask_b32_e64 v15, v49, v15, s2
	s_delay_alu instid0(VALU_DEP_3) | instskip(NEXT) | instid1(VALU_DEP_3)
	v_bfe_u32 v46, v0, 29, 1
	v_alignbit_b32 v44, v0, v45, 30
	s_delay_alu instid0(VALU_DEP_3) | instskip(SKIP_1) | instid1(VALU_DEP_4)
	v_alignbit_b32 v45, v45, v15, 30
	v_alignbit_b32 v15, v15, v43, 30
	v_sub_nc_u32_e32 v48, 0, v46
	s_delay_alu instid0(VALU_DEP_1) | instskip(SKIP_3) | instid1(VALU_DEP_4)
	v_xor_b32_e32 v47, v44, v48
	v_cmp_ne_u32_e32 vcc_lo, v44, v48
	v_xor_b32_e32 v43, v45, v48
	v_xor_b32_e32 v15, v15, v48
	v_clz_i32_u32_e32 v50, v47
	s_delay_alu instid0(VALU_DEP_1) | instskip(NEXT) | instid1(VALU_DEP_1)
	v_add_nc_u32_e32 v49, 1, v50
	v_cndmask_b32_e32 v44, 33, v49, vcc_lo
	s_delay_alu instid0(VALU_DEP_1) | instskip(NEXT) | instid1(VALU_DEP_1)
	v_sub_nc_u32_e32 v45, 32, v44
	v_alignbit_b32 v47, v47, v43, v45
	v_alignbit_b32 v15, v43, v15, v45
	v_lshrrev_b32_e32 v43, 29, v0
	s_delay_alu instid0(VALU_DEP_2) | instskip(NEXT) | instid1(VALU_DEP_2)
	v_alignbit_b32 v45, v47, v15, 9
	v_lshlrev_b32_e32 v43, 31, v43
	v_alignbit_b32 v47, v44, v47, 9
	s_delay_alu instid0(VALU_DEP_3) | instskip(NEXT) | instid1(VALU_DEP_2)
	v_clz_i32_u32_e32 v48, v45
	v_or_b32_e32 v47, v47, v43
	v_or_b32_e32 v43, 0x33800000, v43
	s_delay_alu instid0(VALU_DEP_3) | instskip(NEXT) | instid1(VALU_DEP_3)
	v_min_u32_e32 v48, 32, v48
	v_xor_b32_e32 v47, 1.0, v47
	s_delay_alu instid0(VALU_DEP_2) | instskip(SKIP_1) | instid1(VALU_DEP_3)
	v_sub_nc_u32_e32 v49, 31, v48
	v_add_lshl_u32 v44, v48, v44, 23
	v_mul_f32_e32 v48, 0x3fc90fda, v47
	s_delay_alu instid0(VALU_DEP_3) | instskip(NEXT) | instid1(VALU_DEP_3)
	v_alignbit_b32 v15, v45, v15, v49
	v_sub_nc_u32_e32 v43, v43, v44
	s_delay_alu instid0(VALU_DEP_3) | instskip(NEXT) | instid1(VALU_DEP_3)
	v_fma_f32 v44, 0x3fc90fda, v47, -v48
	v_lshrrev_b32_e32 v15, 9, v15
	s_delay_alu instid0(VALU_DEP_2) | instskip(NEXT) | instid1(VALU_DEP_2)
	v_fmac_f32_e32 v44, 0x33a22168, v47
	v_or_b32_e32 v15, v43, v15
	s_delay_alu instid0(VALU_DEP_1) | instskip(SKIP_1) | instid1(VALU_DEP_1)
	v_fmac_f32_e32 v44, 0x3fc90fda, v15
	v_lshrrev_b32_e32 v15, 30, v0
	v_dual_add_f32 v0, v48, v44 :: v_dual_add_nc_u32 v15, v46, v15
.LBB6_22:                               ;   in Loop: Header=BB6_9 Depth=1
	s_and_not1_saveexec_b32 s0, s22
; %bb.23:                               ;   in Loop: Header=BB6_9 Depth=1
	v_mul_f32_e64 v0, 0x3f22f983, |v5|
	s_delay_alu instid0(VALU_DEP_1) | instskip(NEXT) | instid1(VALU_DEP_1)
	v_rndne_f32_e32 v15, v0
	v_fma_f32 v0, 0xbfc90fda, v15, |v5|
	s_delay_alu instid0(VALU_DEP_1) | instskip(NEXT) | instid1(VALU_DEP_1)
	v_fmac_f32_e32 v0, 0xb3a22168, v15
	v_fmac_f32_e32 v0, 0xa7c234c4, v15
	v_cvt_i32_f32_e32 v15, v15
; %bb.24:                               ;   in Loop: Header=BB6_9 Depth=1
	s_or_b32 exec_lo, exec_lo, s0
	s_delay_alu instid0(VALU_DEP_2) | instskip(NEXT) | instid1(VALU_DEP_2)
	v_mul_f32_e32 v43, v0, v0
	v_and_b32_e32 v15, 1, v15
	s_delay_alu instid0(VALU_DEP_2) | instskip(SKIP_1) | instid1(VALU_DEP_3)
	v_fmaak_f32 v44, s19, v43, 0xbf039337
	v_fmaak_f32 v45, s15, v43, 0x3ec54587
	v_cmp_eq_u32_e32 vcc_lo, 0, v15
	s_delay_alu instid0(VALU_DEP_3) | instskip(NEXT) | instid1(VALU_DEP_1)
	v_dual_fmaak_f32 v44, v43, v44, 0x3f93f425 :: v_dual_add_nc_u32 v15, s20, v38
	v_rcp_f32_e32 v44, v44
	s_waitcnt_depctr 0xfff
	v_mul_f32_e32 v44, v45, v44
	s_delay_alu instid0(VALU_DEP_1) | instskip(NEXT) | instid1(VALU_DEP_1)
	v_mul_f32_e32 v43, v43, v44
	v_fma_f32 v44, v43, v0, v0
	s_delay_alu instid0(VALU_DEP_1) | instskip(SKIP_1) | instid1(VALU_DEP_1)
	v_rcp_f32_e32 v45, v44
	v_sub_f32_e32 v46, v44, v0
	v_fma_f32 v0, v43, v0, -v46
	s_waitcnt_depctr 0xfff
	v_fma_f32 v43, v44, -v45, 1.0
	s_delay_alu instid0(VALU_DEP_1) | instskip(NEXT) | instid1(VALU_DEP_1)
	v_fma_f32 v0, v0, -v45, v43
	v_fma_f32 v0, v0, -v45, -v45
	s_delay_alu instid0(VALU_DEP_1) | instskip(SKIP_1) | instid1(VALU_DEP_2)
	v_cndmask_b32_e32 v0, v0, v44, vcc_lo
	v_cmp_class_f32_e64 vcc_lo, v5, 0x1f8
	v_xor3_b32 v0, v9, v5, v0
	v_ashrrev_i32_e32 v9, 31, v15
	s_delay_alu instid0(VALU_DEP_2) | instskip(SKIP_1) | instid1(VALU_DEP_3)
	v_cndmask_b32_e32 v0, 0x7fc00000, v0, vcc_lo
	v_add_co_u32 v43, vcc_lo, s12, v15
	v_add_co_ci_u32_e32 v44, vcc_lo, s13, v9, vcc_lo
	s_delay_alu instid0(VALU_DEP_3)
	v_fma_f32 v0, s10, v0, s9
	global_store_b32 v[43:44], v0, off
.LBB6_25:                               ;   in Loop: Header=BB6_9 Depth=1
	s_or_b32 exec_lo, exec_lo, s21
	v_add_co_u32 v43, vcc_lo, s14, v12
	v_add_co_ci_u32_e32 v44, vcc_lo, 0, v13, vcc_lo
	s_mov_b32 s21, exec_lo
	s_delay_alu instid0(VALU_DEP_1)
	v_cmpx_gt_i64_e64 s[4:5], v[43:44]
	s_cbranch_execz .LBB6_31
; %bb.26:                               ;   in Loop: Header=BB6_9 Depth=1
	v_cvt_f32_u32_e32 v0, v6
                                        ; implicit-def: $vgpr9
	s_mov_b32 s1, exec_lo
	s_delay_alu instid0(VALU_DEP_1) | instskip(NEXT) | instid1(VALU_DEP_1)
	v_fmaak_f32 v0, 0x2f800000, v0, 0x2f800000
	v_cmp_nlt_f32_e32 vcc_lo, 0x3f7ffffe, v0
	v_cndmask_b32_e32 v0, 0x3f7ffffe, v0, vcc_lo
	s_delay_alu instid0(VALU_DEP_1) | instskip(SKIP_1) | instid1(VALU_DEP_1)
	v_cmp_ngt_f32_e32 vcc_lo, 0x34000000, v0
	v_cndmask_b32_e32 v0, 0x34000000, v0, vcc_lo
	v_add_f32_e32 v0, -0.5, v0
	s_delay_alu instid0(VALU_DEP_1) | instskip(NEXT) | instid1(VALU_DEP_1)
	v_mul_f32_e32 v5, 0x40490fdb, v0
                                        ; implicit-def: $vgpr0
	v_and_b32_e32 v6, 0x7fffffff, v5
	v_cmpx_ngt_f32_e64 0x48000000, |v5|
	s_xor_b32 s22, exec_lo, s1
	s_cbranch_execz .LBB6_28
; %bb.27:                               ;   in Loop: Header=BB6_9 Depth=1
	s_delay_alu instid0(VALU_DEP_2) | instskip(SKIP_1) | instid1(VALU_DEP_2)
	v_and_or_b32 v9, v6, s18, 0x800000
	v_lshrrev_b32_e32 v15, 23, v6
	v_mad_u64_u32 v[43:44], null, 0xfe5163ab, v9, 0
	s_delay_alu instid0(VALU_DEP_2) | instskip(NEXT) | instid1(VALU_DEP_1)
	v_add_nc_u32_e32 v15, 0xffffff88, v15
	v_cmp_lt_u32_e32 vcc_lo, 63, v15
	s_delay_alu instid0(VALU_DEP_3) | instskip(SKIP_1) | instid1(VALU_DEP_2)
	v_mov_b32_e32 v0, v44
	v_cndmask_b32_e64 v49, 0, 0xffffffc0, vcc_lo
	v_mad_u64_u32 v[44:45], null, 0x3c439041, v9, v[0:1]
	s_delay_alu instid0(VALU_DEP_2) | instskip(NEXT) | instid1(VALU_DEP_1)
	v_add_nc_u32_e32 v15, v49, v15
	v_cmp_lt_u32_e64 s0, 31, v15
	s_delay_alu instid0(VALU_DEP_1) | instskip(NEXT) | instid1(VALU_DEP_1)
	v_cndmask_b32_e64 v50, 0, 0xffffffe0, s0
	v_dual_mov_b32 v0, v45 :: v_dual_add_nc_u32 v15, v50, v15
	s_delay_alu instid0(VALU_DEP_1) | instskip(NEXT) | instid1(VALU_DEP_2)
	v_mad_u64_u32 v[45:46], null, 0xdb629599, v9, v[0:1]
	v_cmp_lt_u32_e64 s1, 31, v15
	s_delay_alu instid0(VALU_DEP_2) | instskip(NEXT) | instid1(VALU_DEP_1)
	v_dual_mov_b32 v0, v46 :: v_dual_cndmask_b32 v43, v45, v43
	v_mad_u64_u32 v[46:47], null, 0xf534ddc0, v9, v[0:1]
	s_delay_alu instid0(VALU_DEP_1) | instskip(NEXT) | instid1(VALU_DEP_1)
	v_mov_b32_e32 v0, v47
	v_mad_u64_u32 v[47:48], null, 0xfc2757d1, v9, v[0:1]
	s_delay_alu instid0(VALU_DEP_1) | instskip(NEXT) | instid1(VALU_DEP_1)
	v_mov_b32_e32 v0, v48
	v_mad_u64_u32 v[48:49], null, 0x4e441529, v9, v[0:1]
	s_delay_alu instid0(VALU_DEP_1) | instskip(NEXT) | instid1(VALU_DEP_1)
	v_mov_b32_e32 v0, v49
	v_mad_u64_u32 v[49:50], null, 0xa2f9836e, v9, v[0:1]
	v_cndmask_b32_e64 v0, 0, 0xffffffe0, s1
	s_delay_alu instid0(VALU_DEP_4) | instskip(NEXT) | instid1(VALU_DEP_2)
	v_cndmask_b32_e32 v9, v48, v46, vcc_lo
	v_dual_cndmask_b32 v15, v46, v44 :: v_dual_add_nc_u32 v0, v0, v15
	s_delay_alu instid0(VALU_DEP_4) | instskip(SKIP_1) | instid1(VALU_DEP_3)
	v_dual_cndmask_b32 v49, v49, v47 :: v_dual_cndmask_b32 v48, v50, v48
	v_cndmask_b32_e32 v47, v47, v45, vcc_lo
	v_cmp_eq_u32_e64 s2, 0, v0
	s_delay_alu instid0(VALU_DEP_3) | instskip(NEXT) | instid1(VALU_DEP_4)
	v_cndmask_b32_e64 v44, v49, v9, s0
	v_cndmask_b32_e64 v46, v48, v49, s0
	s_delay_alu instid0(VALU_DEP_4)
	v_cndmask_b32_e64 v9, v9, v47, s0
	v_sub_nc_u32_e32 v48, 32, v0
	v_cndmask_b32_e64 v47, v47, v15, s0
	v_cndmask_b32_e64 v15, v15, v43, s0
	;; [unrolled: 1-line block ×4, first 2 shown]
	s_delay_alu instid0(VALU_DEP_4) | instskip(NEXT) | instid1(VALU_DEP_4)
	v_cndmask_b32_e64 v9, v9, v47, s1
	v_cndmask_b32_e64 v15, v47, v15, s1
	s_delay_alu instid0(VALU_DEP_3) | instskip(NEXT) | instid1(VALU_DEP_3)
	v_alignbit_b32 v49, v46, v44, v48
	v_alignbit_b32 v50, v44, v9, v48
	s_delay_alu instid0(VALU_DEP_3) | instskip(NEXT) | instid1(VALU_DEP_3)
	v_alignbit_b32 v48, v9, v15, v48
	v_cndmask_b32_e64 v0, v49, v46, s2
	s_delay_alu instid0(VALU_DEP_3) | instskip(NEXT) | instid1(VALU_DEP_3)
	v_cndmask_b32_e64 v44, v50, v44, s2
	v_cndmask_b32_e64 v9, v48, v9, s2
	s_delay_alu instid0(VALU_DEP_3) | instskip(NEXT) | instid1(VALU_DEP_3)
	v_bfe_u32 v45, v0, 29, 1
	v_alignbit_b32 v43, v0, v44, 30
	s_delay_alu instid0(VALU_DEP_3) | instskip(SKIP_1) | instid1(VALU_DEP_4)
	v_alignbit_b32 v44, v44, v9, 30
	v_alignbit_b32 v9, v9, v15, 30
	v_sub_nc_u32_e32 v46, 0, v45
	s_delay_alu instid0(VALU_DEP_1) | instskip(SKIP_3) | instid1(VALU_DEP_4)
	v_xor_b32_e32 v47, v43, v46
	v_cmp_ne_u32_e32 vcc_lo, v43, v46
	v_xor_b32_e32 v15, v44, v46
	v_xor_b32_e32 v9, v9, v46
	v_clz_i32_u32_e32 v49, v47
	s_delay_alu instid0(VALU_DEP_1) | instskip(NEXT) | instid1(VALU_DEP_1)
	v_add_nc_u32_e32 v48, 1, v49
	v_cndmask_b32_e32 v43, 33, v48, vcc_lo
	s_delay_alu instid0(VALU_DEP_1) | instskip(NEXT) | instid1(VALU_DEP_1)
	v_sub_nc_u32_e32 v44, 32, v43
	v_alignbit_b32 v46, v47, v15, v44
	v_alignbit_b32 v9, v15, v9, v44
	v_lshrrev_b32_e32 v15, 29, v0
	s_delay_alu instid0(VALU_DEP_2) | instskip(NEXT) | instid1(VALU_DEP_2)
	v_alignbit_b32 v44, v46, v9, 9
	v_lshlrev_b32_e32 v15, 31, v15
	v_alignbit_b32 v46, v43, v46, 9
	s_delay_alu instid0(VALU_DEP_3) | instskip(NEXT) | instid1(VALU_DEP_2)
	v_clz_i32_u32_e32 v47, v44
	v_or_b32_e32 v46, v46, v15
	v_or_b32_e32 v15, 0x33800000, v15
	s_delay_alu instid0(VALU_DEP_3) | instskip(NEXT) | instid1(VALU_DEP_3)
	v_min_u32_e32 v47, 32, v47
	v_xor_b32_e32 v46, 1.0, v46
	s_delay_alu instid0(VALU_DEP_2) | instskip(SKIP_1) | instid1(VALU_DEP_3)
	v_sub_nc_u32_e32 v48, 31, v47
	v_add_lshl_u32 v43, v47, v43, 23
	v_mul_f32_e32 v47, 0x3fc90fda, v46
	s_delay_alu instid0(VALU_DEP_3) | instskip(NEXT) | instid1(VALU_DEP_3)
	v_alignbit_b32 v9, v44, v9, v48
	v_sub_nc_u32_e32 v15, v15, v43
	s_delay_alu instid0(VALU_DEP_3) | instskip(NEXT) | instid1(VALU_DEP_3)
	v_fma_f32 v43, 0x3fc90fda, v46, -v47
	v_lshrrev_b32_e32 v9, 9, v9
	s_delay_alu instid0(VALU_DEP_2) | instskip(NEXT) | instid1(VALU_DEP_2)
	v_fmac_f32_e32 v43, 0x33a22168, v46
	v_or_b32_e32 v9, v15, v9
	s_delay_alu instid0(VALU_DEP_1) | instskip(SKIP_1) | instid1(VALU_DEP_1)
	v_fmac_f32_e32 v43, 0x3fc90fda, v9
	v_lshrrev_b32_e32 v9, 30, v0
	v_dual_add_f32 v0, v47, v43 :: v_dual_add_nc_u32 v9, v45, v9
.LBB6_28:                               ;   in Loop: Header=BB6_9 Depth=1
	s_and_not1_saveexec_b32 s0, s22
; %bb.29:                               ;   in Loop: Header=BB6_9 Depth=1
	v_mul_f32_e64 v0, 0x3f22f983, |v5|
	s_delay_alu instid0(VALU_DEP_1) | instskip(NEXT) | instid1(VALU_DEP_1)
	v_rndne_f32_e32 v9, v0
	v_fma_f32 v0, 0xbfc90fda, v9, |v5|
	s_delay_alu instid0(VALU_DEP_1) | instskip(NEXT) | instid1(VALU_DEP_1)
	v_fmac_f32_e32 v0, 0xb3a22168, v9
	v_fmac_f32_e32 v0, 0xa7c234c4, v9
	v_cvt_i32_f32_e32 v9, v9
; %bb.30:                               ;   in Loop: Header=BB6_9 Depth=1
	s_or_b32 exec_lo, exec_lo, s0
	s_delay_alu instid0(VALU_DEP_2) | instskip(NEXT) | instid1(VALU_DEP_1)
	v_mul_f32_e32 v15, v0, v0
	v_fmaak_f32 v43, s19, v15, 0xbf039337
	v_fmaak_f32 v44, s15, v15, 0x3ec54587
	s_delay_alu instid0(VALU_DEP_2) | instskip(NEXT) | instid1(VALU_DEP_1)
	v_fmaak_f32 v43, v15, v43, 0x3f93f425
	v_rcp_f32_e32 v43, v43
	s_waitcnt_depctr 0xfff
	v_mul_f32_e32 v43, v44, v43
	s_delay_alu instid0(VALU_DEP_1) | instskip(NEXT) | instid1(VALU_DEP_1)
	v_mul_f32_e32 v15, v15, v43
	v_fma_f32 v43, v15, v0, v0
	s_delay_alu instid0(VALU_DEP_1) | instskip(SKIP_1) | instid1(VALU_DEP_1)
	v_rcp_f32_e32 v44, v43
	v_sub_f32_e32 v45, v43, v0
	v_fma_f32 v0, v15, v0, -v45
	s_waitcnt_depctr 0xfff
	v_fma_f32 v15, v43, -v44, 1.0
	s_delay_alu instid0(VALU_DEP_1) | instskip(NEXT) | instid1(VALU_DEP_1)
	v_fma_f32 v0, v0, -v44, v15
	v_fma_f32 v0, v0, -v44, -v44
	v_and_b32_e32 v9, 1, v9
	s_delay_alu instid0(VALU_DEP_1) | instskip(NEXT) | instid1(VALU_DEP_3)
	v_cmp_eq_u32_e32 vcc_lo, 0, v9
	v_dual_cndmask_b32 v0, v0, v43 :: v_dual_add_nc_u32 v9, s20, v41
	v_cmp_class_f32_e64 vcc_lo, v5, 0x1f8
	s_delay_alu instid0(VALU_DEP_2) | instskip(NEXT) | instid1(VALU_DEP_3)
	v_xor3_b32 v0, v6, v5, v0
	v_ashrrev_i32_e32 v6, 31, v9
	s_delay_alu instid0(VALU_DEP_2) | instskip(SKIP_1) | instid1(VALU_DEP_3)
	v_cndmask_b32_e32 v0, 0x7fc00000, v0, vcc_lo
	v_add_co_u32 v5, vcc_lo, s12, v9
	v_add_co_ci_u32_e32 v6, vcc_lo, s13, v6, vcc_lo
	s_delay_alu instid0(VALU_DEP_3)
	v_fma_f32 v0, s10, v0, s9
	global_store_b32 v[5:6], v0, off
.LBB6_31:                               ;   in Loop: Header=BB6_9 Depth=1
	s_or_b32 exec_lo, exec_lo, s21
	v_add_co_u32 v5, vcc_lo, s11, v12
	v_add_co_ci_u32_e32 v6, vcc_lo, 0, v13, vcc_lo
	s_mov_b32 s21, exec_lo
	s_delay_alu instid0(VALU_DEP_1)
	v_cmpx_gt_i64_e64 s[4:5], v[5:6]
	s_cbranch_execz .LBB6_37
; %bb.32:                               ;   in Loop: Header=BB6_9 Depth=1
	v_cvt_f32_u32_e32 v0, v7
                                        ; implicit-def: $vgpr7
	s_mov_b32 s1, exec_lo
	s_delay_alu instid0(VALU_DEP_1) | instskip(NEXT) | instid1(VALU_DEP_1)
	v_fmaak_f32 v0, 0x2f800000, v0, 0x2f800000
	v_cmp_nlt_f32_e32 vcc_lo, 0x3f7ffffe, v0
	v_cndmask_b32_e32 v0, 0x3f7ffffe, v0, vcc_lo
	s_delay_alu instid0(VALU_DEP_1) | instskip(SKIP_1) | instid1(VALU_DEP_1)
	v_cmp_ngt_f32_e32 vcc_lo, 0x34000000, v0
	v_cndmask_b32_e32 v0, 0x34000000, v0, vcc_lo
	v_add_f32_e32 v0, -0.5, v0
	s_delay_alu instid0(VALU_DEP_1) | instskip(NEXT) | instid1(VALU_DEP_1)
	v_mul_f32_e32 v5, 0x40490fdb, v0
                                        ; implicit-def: $vgpr0
	v_and_b32_e32 v6, 0x7fffffff, v5
	v_cmpx_ngt_f32_e64 0x48000000, |v5|
	s_xor_b32 s22, exec_lo, s1
	s_cbranch_execz .LBB6_34
; %bb.33:                               ;   in Loop: Header=BB6_9 Depth=1
	s_delay_alu instid0(VALU_DEP_2) | instskip(SKIP_1) | instid1(VALU_DEP_2)
	v_and_or_b32 v7, v6, s18, 0x800000
	v_lshrrev_b32_e32 v9, 23, v6
	v_mad_u64_u32 v[43:44], null, 0xfe5163ab, v7, 0
	s_delay_alu instid0(VALU_DEP_2) | instskip(NEXT) | instid1(VALU_DEP_1)
	v_add_nc_u32_e32 v9, 0xffffff88, v9
	v_cmp_lt_u32_e32 vcc_lo, 63, v9
	s_delay_alu instid0(VALU_DEP_3) | instskip(SKIP_1) | instid1(VALU_DEP_2)
	v_mov_b32_e32 v0, v44
	v_cndmask_b32_e64 v15, 0, 0xffffffc0, vcc_lo
	v_mad_u64_u32 v[44:45], null, 0x3c439041, v7, v[0:1]
	s_delay_alu instid0(VALU_DEP_1) | instskip(NEXT) | instid1(VALU_DEP_1)
	v_dual_mov_b32 v0, v45 :: v_dual_add_nc_u32 v9, v15, v9
	v_cmp_lt_u32_e64 s0, 31, v9
	s_delay_alu instid0(VALU_DEP_2) | instskip(NEXT) | instid1(VALU_DEP_2)
	v_mad_u64_u32 v[45:46], null, 0xdb629599, v7, v[0:1]
	v_cndmask_b32_e64 v15, 0, 0xffffffe0, s0
	s_delay_alu instid0(VALU_DEP_1) | instskip(NEXT) | instid1(VALU_DEP_1)
	v_dual_mov_b32 v0, v46 :: v_dual_add_nc_u32 v9, v15, v9
	v_cmp_lt_u32_e64 s1, 31, v9
	s_delay_alu instid0(VALU_DEP_2) | instskip(NEXT) | instid1(VALU_DEP_1)
	v_mad_u64_u32 v[46:47], null, 0xf534ddc0, v7, v[0:1]
	v_mov_b32_e32 v0, v47
	s_delay_alu instid0(VALU_DEP_1) | instskip(NEXT) | instid1(VALU_DEP_1)
	v_mad_u64_u32 v[47:48], null, 0xfc2757d1, v7, v[0:1]
	v_mov_b32_e32 v0, v48
	s_delay_alu instid0(VALU_DEP_1) | instskip(NEXT) | instid1(VALU_DEP_1)
	v_mad_u64_u32 v[48:49], null, 0x4e441529, v7, v[0:1]
	v_mov_b32_e32 v0, v49
	s_delay_alu instid0(VALU_DEP_1) | instskip(SKIP_1) | instid1(VALU_DEP_4)
	v_mad_u64_u32 v[49:50], null, 0xa2f9836e, v7, v[0:1]
	v_cndmask_b32_e64 v0, 0, 0xffffffe0, s1
	v_cndmask_b32_e32 v7, v48, v46, vcc_lo
	s_delay_alu instid0(VALU_DEP_2) | instskip(NEXT) | instid1(VALU_DEP_4)
	v_dual_cndmask_b32 v9, v46, v44 :: v_dual_add_nc_u32 v0, v0, v9
	v_dual_cndmask_b32 v15, v49, v47 :: v_dual_cndmask_b32 v48, v50, v48
	v_cndmask_b32_e32 v47, v47, v45, vcc_lo
	s_delay_alu instid0(VALU_DEP_3) | instskip(SKIP_1) | instid1(VALU_DEP_4)
	v_sub_nc_u32_e32 v46, 32, v0
	v_cmp_eq_u32_e64 s2, 0, v0
	v_cndmask_b32_e64 v44, v15, v7, s0
	v_cndmask_b32_e64 v15, v48, v15, s0
	;; [unrolled: 1-line block ×4, first 2 shown]
	s_delay_alu instid0(VALU_DEP_3) | instskip(NEXT) | instid1(VALU_DEP_3)
	v_cndmask_b32_e64 v15, v15, v44, s1
	v_cndmask_b32_e64 v44, v44, v7, s1
	s_delay_alu instid0(VALU_DEP_3) | instskip(NEXT) | instid1(VALU_DEP_2)
	v_cndmask_b32_e64 v7, v7, v47, s1
	v_alignbit_b32 v48, v15, v44, v46
	s_delay_alu instid0(VALU_DEP_2) | instskip(NEXT) | instid1(VALU_DEP_2)
	v_alignbit_b32 v49, v44, v7, v46
	v_cndmask_b32_e64 v0, v48, v15, s2
	v_cndmask_b32_e32 v15, v45, v43, vcc_lo
	s_delay_alu instid0(VALU_DEP_3) | instskip(NEXT) | instid1(VALU_DEP_3)
	v_cndmask_b32_e64 v43, v49, v44, s2
	v_bfe_u32 v44, v0, 29, 1
	s_delay_alu instid0(VALU_DEP_3) | instskip(NEXT) | instid1(VALU_DEP_3)
	v_cndmask_b32_e64 v9, v9, v15, s0
	v_alignbit_b32 v15, v0, v43, 30
	s_delay_alu instid0(VALU_DEP_3) | instskip(NEXT) | instid1(VALU_DEP_3)
	v_sub_nc_u32_e32 v45, 0, v44
	v_cndmask_b32_e64 v9, v47, v9, s1
	s_delay_alu instid0(VALU_DEP_2) | instskip(NEXT) | instid1(VALU_DEP_2)
	v_xor_b32_e32 v47, v15, v45
	v_alignbit_b32 v46, v7, v9, v46
	v_cmp_ne_u32_e32 vcc_lo, v15, v45
	s_delay_alu instid0(VALU_DEP_3) | instskip(NEXT) | instid1(VALU_DEP_3)
	v_clz_i32_u32_e32 v48, v47
	v_cndmask_b32_e64 v7, v46, v7, s2
	s_delay_alu instid0(VALU_DEP_2) | instskip(NEXT) | instid1(VALU_DEP_2)
	v_add_nc_u32_e32 v46, 1, v48
	v_alignbit_b32 v43, v43, v7, 30
	v_alignbit_b32 v7, v7, v9, 30
	s_delay_alu instid0(VALU_DEP_3) | instskip(NEXT) | instid1(VALU_DEP_3)
	v_cndmask_b32_e32 v15, 33, v46, vcc_lo
	v_xor_b32_e32 v9, v43, v45
	s_delay_alu instid0(VALU_DEP_3) | instskip(NEXT) | instid1(VALU_DEP_3)
	v_xor_b32_e32 v7, v7, v45
	v_sub_nc_u32_e32 v43, 32, v15
	s_delay_alu instid0(VALU_DEP_1) | instskip(NEXT) | instid1(VALU_DEP_3)
	v_alignbit_b32 v45, v47, v9, v43
	v_alignbit_b32 v7, v9, v7, v43
	v_lshrrev_b32_e32 v9, 29, v0
	s_delay_alu instid0(VALU_DEP_2) | instskip(NEXT) | instid1(VALU_DEP_2)
	v_alignbit_b32 v43, v45, v7, 9
	v_lshlrev_b32_e32 v9, 31, v9
	v_alignbit_b32 v45, v15, v45, 9
	s_delay_alu instid0(VALU_DEP_3) | instskip(NEXT) | instid1(VALU_DEP_2)
	v_clz_i32_u32_e32 v46, v43
	v_or_b32_e32 v45, v45, v9
	v_or_b32_e32 v9, 0x33800000, v9
	s_delay_alu instid0(VALU_DEP_3) | instskip(NEXT) | instid1(VALU_DEP_3)
	v_min_u32_e32 v46, 32, v46
	v_xor_b32_e32 v45, 1.0, v45
	s_delay_alu instid0(VALU_DEP_2) | instskip(SKIP_1) | instid1(VALU_DEP_3)
	v_sub_nc_u32_e32 v47, 31, v46
	v_add_lshl_u32 v15, v46, v15, 23
	v_mul_f32_e32 v46, 0x3fc90fda, v45
	s_delay_alu instid0(VALU_DEP_3) | instskip(NEXT) | instid1(VALU_DEP_3)
	v_alignbit_b32 v7, v43, v7, v47
	v_sub_nc_u32_e32 v9, v9, v15
	s_delay_alu instid0(VALU_DEP_3) | instskip(NEXT) | instid1(VALU_DEP_3)
	v_fma_f32 v15, 0x3fc90fda, v45, -v46
	v_lshrrev_b32_e32 v7, 9, v7
	s_delay_alu instid0(VALU_DEP_2) | instskip(NEXT) | instid1(VALU_DEP_2)
	v_fmac_f32_e32 v15, 0x33a22168, v45
	v_or_b32_e32 v7, v9, v7
	s_delay_alu instid0(VALU_DEP_1) | instskip(SKIP_1) | instid1(VALU_DEP_2)
	v_fmac_f32_e32 v15, 0x3fc90fda, v7
	v_lshrrev_b32_e32 v7, 30, v0
	v_add_f32_e32 v0, v46, v15
	s_delay_alu instid0(VALU_DEP_2)
	v_add_nc_u32_e32 v7, v44, v7
.LBB6_34:                               ;   in Loop: Header=BB6_9 Depth=1
	s_and_not1_saveexec_b32 s0, s22
; %bb.35:                               ;   in Loop: Header=BB6_9 Depth=1
	v_mul_f32_e64 v0, 0x3f22f983, |v5|
	s_delay_alu instid0(VALU_DEP_1) | instskip(NEXT) | instid1(VALU_DEP_1)
	v_rndne_f32_e32 v7, v0
	v_fma_f32 v0, 0xbfc90fda, v7, |v5|
	s_delay_alu instid0(VALU_DEP_1) | instskip(NEXT) | instid1(VALU_DEP_1)
	v_fmac_f32_e32 v0, 0xb3a22168, v7
	v_fmac_f32_e32 v0, 0xa7c234c4, v7
	v_cvt_i32_f32_e32 v7, v7
; %bb.36:                               ;   in Loop: Header=BB6_9 Depth=1
	s_or_b32 exec_lo, exec_lo, s0
	s_delay_alu instid0(VALU_DEP_2) | instskip(NEXT) | instid1(VALU_DEP_2)
	v_mul_f32_e32 v9, v0, v0
	v_and_b32_e32 v7, 1, v7
	s_delay_alu instid0(VALU_DEP_2) | instskip(SKIP_1) | instid1(VALU_DEP_3)
	v_fmaak_f32 v15, s19, v9, 0xbf039337
	v_fmaak_f32 v43, s15, v9, 0x3ec54587
	v_cmp_eq_u32_e32 vcc_lo, 0, v7
	v_add_nc_u32_e32 v7, s20, v40
	s_delay_alu instid0(VALU_DEP_4) | instskip(NEXT) | instid1(VALU_DEP_1)
	v_fmaak_f32 v15, v9, v15, 0x3f93f425
	v_rcp_f32_e32 v15, v15
	s_waitcnt_depctr 0xfff
	v_mul_f32_e32 v15, v43, v15
	s_delay_alu instid0(VALU_DEP_1) | instskip(NEXT) | instid1(VALU_DEP_1)
	v_mul_f32_e32 v9, v9, v15
	v_fma_f32 v15, v9, v0, v0
	s_delay_alu instid0(VALU_DEP_1) | instskip(SKIP_1) | instid1(VALU_DEP_1)
	v_rcp_f32_e32 v43, v15
	v_sub_f32_e32 v44, v15, v0
	v_fma_f32 v0, v9, v0, -v44
	s_waitcnt_depctr 0xfff
	v_fma_f32 v9, v15, -v43, 1.0
	s_delay_alu instid0(VALU_DEP_1) | instskip(NEXT) | instid1(VALU_DEP_1)
	v_fma_f32 v0, v0, -v43, v9
	v_fma_f32 v0, v0, -v43, -v43
	s_delay_alu instid0(VALU_DEP_1) | instskip(SKIP_1) | instid1(VALU_DEP_2)
	v_cndmask_b32_e32 v0, v0, v15, vcc_lo
	v_cmp_class_f32_e64 vcc_lo, v5, 0x1f8
	v_xor3_b32 v0, v6, v5, v0
	v_ashrrev_i32_e32 v6, 31, v7
	s_delay_alu instid0(VALU_DEP_2) | instskip(SKIP_1) | instid1(VALU_DEP_3)
	v_cndmask_b32_e32 v0, 0x7fc00000, v0, vcc_lo
	v_add_co_u32 v5, vcc_lo, s12, v7
	v_add_co_ci_u32_e32 v6, vcc_lo, s13, v6, vcc_lo
	s_delay_alu instid0(VALU_DEP_3)
	v_fma_f32 v0, s10, v0, s9
	global_store_b32 v[5:6], v0, off
.LBB6_37:                               ;   in Loop: Header=BB6_9 Depth=1
	s_or_b32 exec_lo, exec_lo, s21
	v_add_co_u32 v5, vcc_lo, s17, v12
	v_add_co_ci_u32_e32 v6, vcc_lo, 0, v13, vcc_lo
	s_mov_b32 s21, exec_lo
	s_delay_alu instid0(VALU_DEP_1)
	v_cmpx_gt_i64_e64 s[4:5], v[5:6]
	s_cbranch_execz .LBB6_8
; %bb.38:                               ;   in Loop: Header=BB6_9 Depth=1
	v_cvt_f32_u32_e32 v0, v8
                                        ; implicit-def: $vgpr7
	s_mov_b32 s1, exec_lo
	s_delay_alu instid0(VALU_DEP_1) | instskip(NEXT) | instid1(VALU_DEP_1)
	v_fmaak_f32 v0, 0x2f800000, v0, 0x2f800000
	v_cmp_nlt_f32_e32 vcc_lo, 0x3f7ffffe, v0
	v_cndmask_b32_e32 v0, 0x3f7ffffe, v0, vcc_lo
	s_delay_alu instid0(VALU_DEP_1) | instskip(SKIP_1) | instid1(VALU_DEP_1)
	v_cmp_ngt_f32_e32 vcc_lo, 0x34000000, v0
	v_cndmask_b32_e32 v0, 0x34000000, v0, vcc_lo
	v_add_f32_e32 v0, -0.5, v0
	s_delay_alu instid0(VALU_DEP_1) | instskip(NEXT) | instid1(VALU_DEP_1)
	v_mul_f32_e32 v5, 0x40490fdb, v0
                                        ; implicit-def: $vgpr0
	v_and_b32_e32 v6, 0x7fffffff, v5
	v_cmpx_ngt_f32_e64 0x48000000, |v5|
	s_xor_b32 s22, exec_lo, s1
	s_cbranch_execz .LBB6_40
; %bb.39:                               ;   in Loop: Header=BB6_9 Depth=1
	s_delay_alu instid0(VALU_DEP_2) | instskip(NEXT) | instid1(VALU_DEP_1)
	v_and_or_b32 v15, v6, s18, 0x800000
	v_mad_u64_u32 v[7:8], null, 0xfe5163ab, v15, 0
	s_delay_alu instid0(VALU_DEP_1) | instskip(NEXT) | instid1(VALU_DEP_1)
	v_mov_b32_e32 v0, v8
	v_mad_u64_u32 v[8:9], null, 0x3c439041, v15, v[0:1]
	s_delay_alu instid0(VALU_DEP_1) | instskip(SKIP_1) | instid1(VALU_DEP_1)
	v_mov_b32_e32 v0, v9
	v_lshrrev_b32_e32 v9, 23, v6
	v_add_nc_u32_e32 v9, 0xffffff88, v9
	s_delay_alu instid0(VALU_DEP_1) | instskip(SKIP_1) | instid1(VALU_DEP_1)
	v_cmp_lt_u32_e32 vcc_lo, 63, v9
	v_cndmask_b32_e64 v47, 0, 0xffffffc0, vcc_lo
	v_add_nc_u32_e32 v9, v47, v9
	v_mad_u64_u32 v[43:44], null, 0xdb629599, v15, v[0:1]
	s_delay_alu instid0(VALU_DEP_2) | instskip(NEXT) | instid1(VALU_DEP_2)
	v_cmp_lt_u32_e64 s0, 31, v9
	v_mov_b32_e32 v0, v44
	s_delay_alu instid0(VALU_DEP_2) | instskip(NEXT) | instid1(VALU_DEP_4)
	v_cndmask_b32_e64 v48, 0, 0xffffffe0, s0
	v_cndmask_b32_e32 v7, v43, v7, vcc_lo
	s_delay_alu instid0(VALU_DEP_3) | instskip(NEXT) | instid1(VALU_DEP_3)
	v_mad_u64_u32 v[44:45], null, 0xf534ddc0, v15, v[0:1]
	v_add_nc_u32_e32 v9, v48, v9
	s_delay_alu instid0(VALU_DEP_1) | instskip(NEXT) | instid1(VALU_DEP_3)
	v_cmp_lt_u32_e64 s1, 31, v9
	v_mov_b32_e32 v0, v45
	s_delay_alu instid0(VALU_DEP_4) | instskip(NEXT) | instid1(VALU_DEP_2)
	v_cndmask_b32_e32 v8, v44, v8, vcc_lo
	v_mad_u64_u32 v[45:46], null, 0xfc2757d1, v15, v[0:1]
	s_delay_alu instid0(VALU_DEP_2) | instskip(NEXT) | instid1(VALU_DEP_2)
	v_cndmask_b32_e64 v7, v8, v7, s0
	v_mov_b32_e32 v0, v46
	s_delay_alu instid0(VALU_DEP_1) | instskip(NEXT) | instid1(VALU_DEP_1)
	v_mad_u64_u32 v[46:47], null, 0x4e441529, v15, v[0:1]
	v_mov_b32_e32 v0, v47
	s_delay_alu instid0(VALU_DEP_1) | instskip(SKIP_1) | instid1(VALU_DEP_1)
	v_mad_u64_u32 v[47:48], null, 0xa2f9836e, v15, v[0:1]
	v_cndmask_b32_e64 v0, 0, 0xffffffe0, s1
	v_dual_cndmask_b32 v15, v46, v44 :: v_dual_add_nc_u32 v0, v0, v9
	s_delay_alu instid0(VALU_DEP_3) | instskip(SKIP_1) | instid1(VALU_DEP_3)
	v_dual_cndmask_b32 v47, v47, v45 :: v_dual_cndmask_b32 v46, v48, v46
	v_cndmask_b32_e32 v45, v45, v43, vcc_lo
	v_cmp_eq_u32_e64 s2, 0, v0
	s_delay_alu instid0(VALU_DEP_3) | instskip(NEXT) | instid1(VALU_DEP_4)
	v_cndmask_b32_e64 v9, v47, v15, s0
	v_cndmask_b32_e64 v44, v46, v47, s0
	s_delay_alu instid0(VALU_DEP_4) | instskip(SKIP_2) | instid1(VALU_DEP_4)
	v_cndmask_b32_e64 v15, v15, v45, s0
	v_sub_nc_u32_e32 v46, 32, v0
	v_cndmask_b32_e64 v45, v45, v8, s0
	v_cndmask_b32_e64 v44, v44, v9, s1
	s_delay_alu instid0(VALU_DEP_4) | instskip(NEXT) | instid1(VALU_DEP_3)
	v_cndmask_b32_e64 v9, v9, v15, s1
	v_cndmask_b32_e64 v15, v15, v45, s1
	;; [unrolled: 1-line block ×3, first 2 shown]
	s_delay_alu instid0(VALU_DEP_3) | instskip(NEXT) | instid1(VALU_DEP_3)
	v_alignbit_b32 v47, v44, v9, v46
	v_alignbit_b32 v48, v9, v15, v46
	s_delay_alu instid0(VALU_DEP_3) | instskip(NEXT) | instid1(VALU_DEP_3)
	v_alignbit_b32 v46, v15, v7, v46
	v_cndmask_b32_e64 v0, v47, v44, s2
	s_delay_alu instid0(VALU_DEP_3) | instskip(NEXT) | instid1(VALU_DEP_3)
	v_cndmask_b32_e64 v9, v48, v9, s2
	v_cndmask_b32_e64 v15, v46, v15, s2
	s_delay_alu instid0(VALU_DEP_3) | instskip(NEXT) | instid1(VALU_DEP_3)
	v_bfe_u32 v43, v0, 29, 1
	v_alignbit_b32 v8, v0, v9, 30
	s_delay_alu instid0(VALU_DEP_3) | instskip(SKIP_1) | instid1(VALU_DEP_4)
	v_alignbit_b32 v9, v9, v15, 30
	v_alignbit_b32 v7, v15, v7, 30
	v_sub_nc_u32_e32 v44, 0, v43
	s_delay_alu instid0(VALU_DEP_1) | instskip(SKIP_3) | instid1(VALU_DEP_4)
	v_xor_b32_e32 v45, v8, v44
	v_cmp_ne_u32_e32 vcc_lo, v8, v44
	v_xor_b32_e32 v9, v9, v44
	v_xor_b32_e32 v7, v7, v44
	v_clz_i32_u32_e32 v47, v45
	s_delay_alu instid0(VALU_DEP_1) | instskip(NEXT) | instid1(VALU_DEP_1)
	v_add_nc_u32_e32 v46, 1, v47
	v_cndmask_b32_e32 v8, 33, v46, vcc_lo
	s_delay_alu instid0(VALU_DEP_1) | instskip(NEXT) | instid1(VALU_DEP_1)
	v_sub_nc_u32_e32 v15, 32, v8
	v_alignbit_b32 v44, v45, v9, v15
	v_alignbit_b32 v7, v9, v7, v15
	v_lshrrev_b32_e32 v9, 29, v0
	s_delay_alu instid0(VALU_DEP_2) | instskip(NEXT) | instid1(VALU_DEP_2)
	v_alignbit_b32 v15, v44, v7, 9
	v_lshlrev_b32_e32 v9, 31, v9
	v_alignbit_b32 v44, v8, v44, 9
	s_delay_alu instid0(VALU_DEP_3) | instskip(NEXT) | instid1(VALU_DEP_2)
	v_clz_i32_u32_e32 v45, v15
	v_or_b32_e32 v44, v44, v9
	v_or_b32_e32 v9, 0x33800000, v9
	s_delay_alu instid0(VALU_DEP_3) | instskip(NEXT) | instid1(VALU_DEP_3)
	v_min_u32_e32 v45, 32, v45
	v_xor_b32_e32 v44, 1.0, v44
	s_delay_alu instid0(VALU_DEP_2) | instskip(SKIP_1) | instid1(VALU_DEP_3)
	v_sub_nc_u32_e32 v46, 31, v45
	v_add_lshl_u32 v8, v45, v8, 23
	v_mul_f32_e32 v45, 0x3fc90fda, v44
	s_delay_alu instid0(VALU_DEP_3) | instskip(NEXT) | instid1(VALU_DEP_3)
	v_alignbit_b32 v7, v15, v7, v46
	v_sub_nc_u32_e32 v8, v9, v8
	s_delay_alu instid0(VALU_DEP_3) | instskip(NEXT) | instid1(VALU_DEP_3)
	v_fma_f32 v9, 0x3fc90fda, v44, -v45
	v_lshrrev_b32_e32 v7, 9, v7
	s_delay_alu instid0(VALU_DEP_2) | instskip(NEXT) | instid1(VALU_DEP_2)
	v_fmac_f32_e32 v9, 0x33a22168, v44
	v_or_b32_e32 v7, v8, v7
	s_delay_alu instid0(VALU_DEP_1) | instskip(SKIP_1) | instid1(VALU_DEP_1)
	v_fmac_f32_e32 v9, 0x3fc90fda, v7
	v_lshrrev_b32_e32 v7, 30, v0
	v_dual_add_f32 v0, v45, v9 :: v_dual_add_nc_u32 v7, v43, v7
.LBB6_40:                               ;   in Loop: Header=BB6_9 Depth=1
	s_and_not1_saveexec_b32 s0, s22
	s_cbranch_execz .LBB6_7
; %bb.41:                               ;   in Loop: Header=BB6_9 Depth=1
	v_mul_f32_e64 v0, 0x3f22f983, |v5|
	s_delay_alu instid0(VALU_DEP_1) | instskip(NEXT) | instid1(VALU_DEP_1)
	v_rndne_f32_e32 v7, v0
	v_fma_f32 v0, 0xbfc90fda, v7, |v5|
	s_delay_alu instid0(VALU_DEP_1) | instskip(NEXT) | instid1(VALU_DEP_1)
	v_fmac_f32_e32 v0, 0xb3a22168, v7
	v_fmac_f32_e32 v0, 0xa7c234c4, v7
	v_cvt_i32_f32_e32 v7, v7
	s_branch .LBB6_7
.LBB6_42:
	s_endpgm
.LBB6_43:
                                        ; implicit-def: $sgpr2_sgpr3
	s_branch .LBB6_4
	.section	.rodata,"a",@progbits
	.p2align	6, 0x0
	.amdhsa_kernel _ZN2at6native12_GLOBAL__N_143distribution_elementwise_grid_stride_kernelIfLi4EZNS0_9templates4cuda21uniform_and_transformIffPNS_17CUDAGeneratorImplEZZZNS4_13cauchy_kernelIS7_EEvRNS_18TensorIteratorBaseEddT_ENKUlvE_clEvENKUlvE0_clEvEUlfE_EEvSA_T1_T2_EUlP25hiprandStatePhilox4_32_10E0_ZNS1_27distribution_nullary_kernelIff15HIP_vector_typeIfLj4EES7_SJ_SE_EEvSA_SG_RKT3_T4_EUlifE_EEvlNS_15PhiloxCudaStateESF_SG_
		.amdhsa_group_segment_fixed_size 0
		.amdhsa_private_segment_fixed_size 0
		.amdhsa_kernarg_size 328
		.amdhsa_user_sgpr_count 15
		.amdhsa_user_sgpr_dispatch_ptr 0
		.amdhsa_user_sgpr_queue_ptr 0
		.amdhsa_user_sgpr_kernarg_segment_ptr 1
		.amdhsa_user_sgpr_dispatch_id 0
		.amdhsa_user_sgpr_private_segment_size 0
		.amdhsa_wavefront_size32 1
		.amdhsa_uses_dynamic_stack 0
		.amdhsa_enable_private_segment 0
		.amdhsa_system_sgpr_workgroup_id_x 1
		.amdhsa_system_sgpr_workgroup_id_y 0
		.amdhsa_system_sgpr_workgroup_id_z 0
		.amdhsa_system_sgpr_workgroup_info 0
		.amdhsa_system_vgpr_workitem_id 0
		.amdhsa_next_free_vgpr 52
		.amdhsa_next_free_sgpr 23
		.amdhsa_reserve_vcc 1
		.amdhsa_float_round_mode_32 0
		.amdhsa_float_round_mode_16_64 0
		.amdhsa_float_denorm_mode_32 3
		.amdhsa_float_denorm_mode_16_64 3
		.amdhsa_dx10_clamp 1
		.amdhsa_ieee_mode 1
		.amdhsa_fp16_overflow 0
		.amdhsa_workgroup_processor_mode 1
		.amdhsa_memory_ordered 1
		.amdhsa_forward_progress 0
		.amdhsa_shared_vgpr_count 0
		.amdhsa_exception_fp_ieee_invalid_op 0
		.amdhsa_exception_fp_denorm_src 0
		.amdhsa_exception_fp_ieee_div_zero 0
		.amdhsa_exception_fp_ieee_overflow 0
		.amdhsa_exception_fp_ieee_underflow 0
		.amdhsa_exception_fp_ieee_inexact 0
		.amdhsa_exception_int_div_zero 0
	.end_amdhsa_kernel
	.section	.text._ZN2at6native12_GLOBAL__N_143distribution_elementwise_grid_stride_kernelIfLi4EZNS0_9templates4cuda21uniform_and_transformIffPNS_17CUDAGeneratorImplEZZZNS4_13cauchy_kernelIS7_EEvRNS_18TensorIteratorBaseEddT_ENKUlvE_clEvENKUlvE0_clEvEUlfE_EEvSA_T1_T2_EUlP25hiprandStatePhilox4_32_10E0_ZNS1_27distribution_nullary_kernelIff15HIP_vector_typeIfLj4EES7_SJ_SE_EEvSA_SG_RKT3_T4_EUlifE_EEvlNS_15PhiloxCudaStateESF_SG_,"axG",@progbits,_ZN2at6native12_GLOBAL__N_143distribution_elementwise_grid_stride_kernelIfLi4EZNS0_9templates4cuda21uniform_and_transformIffPNS_17CUDAGeneratorImplEZZZNS4_13cauchy_kernelIS7_EEvRNS_18TensorIteratorBaseEddT_ENKUlvE_clEvENKUlvE0_clEvEUlfE_EEvSA_T1_T2_EUlP25hiprandStatePhilox4_32_10E0_ZNS1_27distribution_nullary_kernelIff15HIP_vector_typeIfLj4EES7_SJ_SE_EEvSA_SG_RKT3_T4_EUlifE_EEvlNS_15PhiloxCudaStateESF_SG_,comdat
.Lfunc_end6:
	.size	_ZN2at6native12_GLOBAL__N_143distribution_elementwise_grid_stride_kernelIfLi4EZNS0_9templates4cuda21uniform_and_transformIffPNS_17CUDAGeneratorImplEZZZNS4_13cauchy_kernelIS7_EEvRNS_18TensorIteratorBaseEddT_ENKUlvE_clEvENKUlvE0_clEvEUlfE_EEvSA_T1_T2_EUlP25hiprandStatePhilox4_32_10E0_ZNS1_27distribution_nullary_kernelIff15HIP_vector_typeIfLj4EES7_SJ_SE_EEvSA_SG_RKT3_T4_EUlifE_EEvlNS_15PhiloxCudaStateESF_SG_, .Lfunc_end6-_ZN2at6native12_GLOBAL__N_143distribution_elementwise_grid_stride_kernelIfLi4EZNS0_9templates4cuda21uniform_and_transformIffPNS_17CUDAGeneratorImplEZZZNS4_13cauchy_kernelIS7_EEvRNS_18TensorIteratorBaseEddT_ENKUlvE_clEvENKUlvE0_clEvEUlfE_EEvSA_T1_T2_EUlP25hiprandStatePhilox4_32_10E0_ZNS1_27distribution_nullary_kernelIff15HIP_vector_typeIfLj4EES7_SJ_SE_EEvSA_SG_RKT3_T4_EUlifE_EEvlNS_15PhiloxCudaStateESF_SG_
                                        ; -- End function
	.section	.AMDGPU.csdata,"",@progbits
; Kernel info:
; codeLenInByte = 6972
; NumSgprs: 25
; NumVgprs: 52
; ScratchSize: 0
; MemoryBound: 0
; FloatMode: 240
; IeeeMode: 1
; LDSByteSize: 0 bytes/workgroup (compile time only)
; SGPRBlocks: 3
; VGPRBlocks: 6
; NumSGPRsForWavesPerEU: 25
; NumVGPRsForWavesPerEU: 52
; Occupancy: 16
; WaveLimiterHint : 0
; COMPUTE_PGM_RSRC2:SCRATCH_EN: 0
; COMPUTE_PGM_RSRC2:USER_SGPR: 15
; COMPUTE_PGM_RSRC2:TRAP_HANDLER: 0
; COMPUTE_PGM_RSRC2:TGID_X_EN: 1
; COMPUTE_PGM_RSRC2:TGID_Y_EN: 0
; COMPUTE_PGM_RSRC2:TGID_Z_EN: 0
; COMPUTE_PGM_RSRC2:TIDIG_COMP_CNT: 0
	.section	.text._ZN2at6native12_GLOBAL__N_143distribution_elementwise_grid_stride_kernelIfLi4EZNS0_9templates4cuda21uniform_and_transformIffPNS_17CUDAGeneratorImplEZZZNS4_13cauchy_kernelIS7_EEvRNS_18TensorIteratorBaseEddT_ENKUlvE_clEvENKUlvE0_clEvEUlfE_EEvSA_T1_T2_EUlP25hiprandStatePhilox4_32_10E0_ZNS1_27distribution_nullary_kernelIff15HIP_vector_typeIfLj4EES7_SJ_SE_EEvSA_SG_RKT3_T4_EUlifE0_EEvlNS_15PhiloxCudaStateESF_SG_,"axG",@progbits,_ZN2at6native12_GLOBAL__N_143distribution_elementwise_grid_stride_kernelIfLi4EZNS0_9templates4cuda21uniform_and_transformIffPNS_17CUDAGeneratorImplEZZZNS4_13cauchy_kernelIS7_EEvRNS_18TensorIteratorBaseEddT_ENKUlvE_clEvENKUlvE0_clEvEUlfE_EEvSA_T1_T2_EUlP25hiprandStatePhilox4_32_10E0_ZNS1_27distribution_nullary_kernelIff15HIP_vector_typeIfLj4EES7_SJ_SE_EEvSA_SG_RKT3_T4_EUlifE0_EEvlNS_15PhiloxCudaStateESF_SG_,comdat
	.globl	_ZN2at6native12_GLOBAL__N_143distribution_elementwise_grid_stride_kernelIfLi4EZNS0_9templates4cuda21uniform_and_transformIffPNS_17CUDAGeneratorImplEZZZNS4_13cauchy_kernelIS7_EEvRNS_18TensorIteratorBaseEddT_ENKUlvE_clEvENKUlvE0_clEvEUlfE_EEvSA_T1_T2_EUlP25hiprandStatePhilox4_32_10E0_ZNS1_27distribution_nullary_kernelIff15HIP_vector_typeIfLj4EES7_SJ_SE_EEvSA_SG_RKT3_T4_EUlifE0_EEvlNS_15PhiloxCudaStateESF_SG_ ; -- Begin function _ZN2at6native12_GLOBAL__N_143distribution_elementwise_grid_stride_kernelIfLi4EZNS0_9templates4cuda21uniform_and_transformIffPNS_17CUDAGeneratorImplEZZZNS4_13cauchy_kernelIS7_EEvRNS_18TensorIteratorBaseEddT_ENKUlvE_clEvENKUlvE0_clEvEUlfE_EEvSA_T1_T2_EUlP25hiprandStatePhilox4_32_10E0_ZNS1_27distribution_nullary_kernelIff15HIP_vector_typeIfLj4EES7_SJ_SE_EEvSA_SG_RKT3_T4_EUlifE0_EEvlNS_15PhiloxCudaStateESF_SG_
	.p2align	8
	.type	_ZN2at6native12_GLOBAL__N_143distribution_elementwise_grid_stride_kernelIfLi4EZNS0_9templates4cuda21uniform_and_transformIffPNS_17CUDAGeneratorImplEZZZNS4_13cauchy_kernelIS7_EEvRNS_18TensorIteratorBaseEddT_ENKUlvE_clEvENKUlvE0_clEvEUlfE_EEvSA_T1_T2_EUlP25hiprandStatePhilox4_32_10E0_ZNS1_27distribution_nullary_kernelIff15HIP_vector_typeIfLj4EES7_SJ_SE_EEvSA_SG_RKT3_T4_EUlifE0_EEvlNS_15PhiloxCudaStateESF_SG_,@function
_ZN2at6native12_GLOBAL__N_143distribution_elementwise_grid_stride_kernelIfLi4EZNS0_9templates4cuda21uniform_and_transformIffPNS_17CUDAGeneratorImplEZZZNS4_13cauchy_kernelIS7_EEvRNS_18TensorIteratorBaseEddT_ENKUlvE_clEvENKUlvE0_clEvEUlfE_EEvSA_T1_T2_EUlP25hiprandStatePhilox4_32_10E0_ZNS1_27distribution_nullary_kernelIff15HIP_vector_typeIfLj4EES7_SJ_SE_EEvSA_SG_RKT3_T4_EUlifE0_EEvlNS_15PhiloxCudaStateESF_SG_: ; @_ZN2at6native12_GLOBAL__N_143distribution_elementwise_grid_stride_kernelIfLi4EZNS0_9templates4cuda21uniform_and_transformIffPNS_17CUDAGeneratorImplEZZZNS4_13cauchy_kernelIS7_EEvRNS_18TensorIteratorBaseEddT_ENKUlvE_clEvENKUlvE0_clEvEUlfE_EEvSA_T1_T2_EUlP25hiprandStatePhilox4_32_10E0_ZNS1_27distribution_nullary_kernelIff15HIP_vector_typeIfLj4EES7_SJ_SE_EEvSA_SG_RKT3_T4_EUlifE0_EEvlNS_15PhiloxCudaStateESF_SG_
; %bb.0:
	s_clause 0x2
	s_load_b64 s[4:5], s[0:1], 0x10
	s_load_b128 s[16:19], s[0:1], 0x0
	s_load_b32 s2, s[0:1], 0x20
	s_waitcnt lgkmcnt(0)
	v_dual_mov_b32 v2, s4 :: v_dual_mov_b32 v3, s5
	v_dual_mov_b32 v10, s18 :: v_dual_mov_b32 v11, s19
	s_bitcmp0_b32 s2, 0
	s_mov_b32 s2, 0
	s_cbranch_scc1 .LBB7_2
; %bb.1:
	v_dual_mov_b32 v1, s4 :: v_dual_mov_b32 v2, s5
	v_dual_mov_b32 v4, s18 :: v_dual_mov_b32 v5, s19
	s_load_b64 s[4:5], s[0:1], 0x18
	flat_load_b64 v[2:3], v[1:2]
	flat_load_b64 v[10:11], v[4:5]
	s_waitcnt vmcnt(1) lgkmcnt(0)
	v_add_co_u32 v2, vcc_lo, v2, s4
	v_add_co_ci_u32_e32 v3, vcc_lo, s5, v3, vcc_lo
.LBB7_2:
	s_clause 0x1
	s_load_b32 s3, s[0:1], 0x154
	s_load_b32 s4, s[0:1], 0x148
	s_waitcnt lgkmcnt(0)
	s_and_b32 s5, s3, 0xffff
	s_add_u32 s6, s16, -1
	s_mul_i32 s26, s4, s5
	s_addc_u32 s3, s17, -1
	s_lshl_b32 s27, s26, 2
	s_cmp_lg_u64 s[2:3], 0
	s_cbranch_scc0 .LBB7_95
; %bb.3:
	v_cvt_f32_ubyte0_e32 v1, 0
	v_cvt_f32_u32_e32 v4, s27
	s_sub_u32 s8, 0, s27
	s_subb_u32 s9, 0, 0
	s_delay_alu instid0(VALU_DEP_1) | instskip(NEXT) | instid1(VALU_DEP_1)
	v_fmamk_f32 v1, v1, 0x4f800000, v4
	v_rcp_f32_e32 v1, v1
	s_waitcnt_depctr 0xfff
	v_mul_f32_e32 v1, 0x5f7ffffc, v1
	s_delay_alu instid0(VALU_DEP_1) | instskip(NEXT) | instid1(VALU_DEP_1)
	v_mul_f32_e32 v4, 0x2f800000, v1
	v_trunc_f32_e32 v4, v4
	s_delay_alu instid0(VALU_DEP_1) | instskip(SKIP_1) | instid1(VALU_DEP_2)
	v_fmamk_f32 v1, v4, 0xcf800000, v1
	v_cvt_u32_f32_e32 v4, v4
	v_cvt_u32_f32_e32 v1, v1
	s_delay_alu instid0(VALU_DEP_2) | instskip(NEXT) | instid1(VALU_DEP_2)
	v_readfirstlane_b32 s2, v4
	v_readfirstlane_b32 s7, v1
	s_delay_alu instid0(VALU_DEP_2) | instskip(NEXT) | instid1(VALU_DEP_1)
	s_mul_i32 s10, s8, s2
	s_mul_hi_u32 s12, s8, s7
	s_mul_i32 s11, s9, s7
	s_add_i32 s10, s12, s10
	s_mul_i32 s13, s8, s7
	s_add_i32 s10, s10, s11
	s_mul_hi_u32 s12, s7, s13
	s_mul_hi_u32 s14, s2, s13
	s_mul_i32 s11, s2, s13
	s_mul_hi_u32 s13, s7, s10
	s_mul_i32 s7, s7, s10
	s_mul_hi_u32 s18, s2, s10
	s_add_u32 s7, s12, s7
	s_addc_u32 s12, 0, s13
	s_add_u32 s7, s7, s11
	s_mul_i32 s10, s2, s10
	s_addc_u32 s7, s12, s14
	s_addc_u32 s11, s18, 0
	s_add_u32 s7, s7, s10
	s_addc_u32 s10, 0, s11
	v_add_co_u32 v1, s7, v1, s7
	s_delay_alu instid0(VALU_DEP_1) | instskip(SKIP_1) | instid1(VALU_DEP_1)
	s_cmp_lg_u32 s7, 0
	s_addc_u32 s2, s2, s10
	v_readfirstlane_b32 s7, v1
	s_mul_i32 s10, s8, s2
	s_delay_alu instid0(VALU_DEP_1)
	s_mul_hi_u32 s11, s8, s7
	s_mul_i32 s9, s9, s7
	s_add_i32 s10, s11, s10
	s_mul_i32 s8, s8, s7
	s_add_i32 s10, s10, s9
	s_mul_hi_u32 s11, s2, s8
	s_mul_i32 s12, s2, s8
	s_mul_hi_u32 s8, s7, s8
	s_mul_hi_u32 s13, s7, s10
	s_mul_i32 s7, s7, s10
	s_mul_hi_u32 s9, s2, s10
	s_add_u32 s7, s8, s7
	s_addc_u32 s8, 0, s13
	s_add_u32 s7, s7, s12
	s_mul_i32 s10, s2, s10
	s_addc_u32 s7, s8, s11
	s_addc_u32 s8, s9, 0
	s_add_u32 s7, s7, s10
	s_addc_u32 s8, 0, s8
	v_add_co_u32 v1, s7, v1, s7
	s_delay_alu instid0(VALU_DEP_1) | instskip(SKIP_2) | instid1(VALU_DEP_1)
	s_cmp_lg_u32 s7, 0
	s_addc_u32 s7, s2, s8
	s_ashr_i32 s8, s3, 31
	v_readfirstlane_b32 s10, v1
	s_add_u32 s2, s6, s8
	s_mov_b32 s9, s8
	s_addc_u32 s3, s3, s8
	s_delay_alu instid0(SALU_CYCLE_1) | instskip(NEXT) | instid1(SALU_CYCLE_1)
	s_xor_b64 s[2:3], s[2:3], s[8:9]
	s_mul_i32 s12, s2, s7
	s_mul_hi_u32 s13, s2, s10
	s_mul_hi_u32 s11, s2, s7
	;; [unrolled: 1-line block ×3, first 2 shown]
	s_mul_i32 s10, s3, s10
	s_add_u32 s12, s13, s12
	s_addc_u32 s11, 0, s11
	s_mul_hi_u32 s14, s3, s7
	s_add_u32 s10, s12, s10
	s_mul_i32 s7, s3, s7
	s_addc_u32 s10, s11, s18
	s_addc_u32 s11, s14, 0
	s_add_u32 s7, s10, s7
	s_addc_u32 s10, 0, s11
	s_mul_i32 s12, s27, s7
	s_add_u32 s11, s7, 1
	v_sub_co_u32 v1, s2, s2, s12
	s_mul_hi_u32 s12, s27, s7
	s_addc_u32 s13, s10, 0
	s_mul_i32 s14, s27, s10
	s_delay_alu instid0(VALU_DEP_1)
	v_sub_co_u32 v4, s18, v1, s27
	s_add_u32 s19, s7, 2
	s_addc_u32 s20, s10, 0
	s_add_i32 s12, s12, s14
	s_cmp_lg_u32 s2, 0
	v_readfirstlane_b32 s2, v4
	s_subb_u32 s3, s3, s12
	s_cmp_lg_u32 s18, 0
	s_subb_u32 s12, s3, 0
	s_delay_alu instid0(VALU_DEP_1) | instskip(SKIP_4) | instid1(SALU_CYCLE_1)
	s_cmp_ge_u32 s2, s27
	s_cselect_b32 s2, -1, 0
	s_cmp_eq_u32 s12, 0
	v_readfirstlane_b32 s12, v1
	s_cselect_b32 s2, s2, -1
	s_cmp_lg_u32 s2, 0
	s_cselect_b32 s2, s19, s11
	s_cselect_b32 s11, s20, s13
	s_cmp_ge_u32 s12, s27
	s_cselect_b32 s12, -1, 0
	s_cmp_eq_u32 s3, 0
	s_cselect_b32 s3, s12, -1
	s_delay_alu instid0(SALU_CYCLE_1) | instskip(SKIP_2) | instid1(SALU_CYCLE_1)
	s_cmp_lg_u32 s3, 0
	s_cselect_b32 s3, s11, s10
	s_cselect_b32 s2, s2, s7
	s_xor_b64 s[2:3], s[2:3], s[8:9]
	s_delay_alu instid0(SALU_CYCLE_1)
	s_sub_u32 s2, s2, s8
	s_subb_u32 s3, s3, s8
	s_cbranch_execnz .LBB7_5
.LBB7_4:
	v_cvt_f32_u32_e32 v1, s27
	s_sub_i32 s3, 0, s27
	s_delay_alu instid0(VALU_DEP_1) | instskip(SKIP_2) | instid1(VALU_DEP_1)
	v_rcp_iflag_f32_e32 v1, v1
	s_waitcnt_depctr 0xfff
	v_mul_f32_e32 v1, 0x4f7ffffe, v1
	v_cvt_u32_f32_e32 v1, v1
	s_delay_alu instid0(VALU_DEP_1) | instskip(NEXT) | instid1(VALU_DEP_1)
	v_readfirstlane_b32 s2, v1
	s_mul_i32 s3, s3, s2
	s_delay_alu instid0(SALU_CYCLE_1) | instskip(NEXT) | instid1(SALU_CYCLE_1)
	s_mul_hi_u32 s3, s2, s3
	s_add_i32 s2, s2, s3
	s_delay_alu instid0(SALU_CYCLE_1) | instskip(NEXT) | instid1(SALU_CYCLE_1)
	s_mul_hi_u32 s2, s6, s2
	s_mul_i32 s3, s2, s27
	s_delay_alu instid0(SALU_CYCLE_1)
	s_sub_i32 s3, s6, s3
	s_add_i32 s6, s2, 1
	s_sub_i32 s7, s3, s27
	s_cmp_ge_u32 s3, s27
	s_cselect_b32 s2, s6, s2
	s_cselect_b32 s3, s7, s3
	s_add_i32 s6, s2, 1
	s_cmp_ge_u32 s3, s27
	s_mov_b32 s3, 0
	s_cselect_b32 s2, s6, s2
.LBB7_5:
	v_mov_b32_e32 v1, 0
	s_add_u32 s2, s2, 1
	s_addc_u32 s3, s3, 0
	s_mul_hi_u32 s6, s26, s2
	s_mul_i32 s3, s26, s3
	v_mad_u64_u32 v[12:13], null, s5, s15, v[0:1]
	s_mul_hi_u32 s4, s4, s5
	s_add_i32 s3, s6, s3
	s_mul_i32 s4, s4, s2
	s_mul_i32 s2, s26, s2
	s_add_i32 s3, s3, s4
	s_delay_alu instid0(SALU_CYCLE_1)
	s_lshl_b64 s[18:19], s[2:3], 2
	s_mov_b32 s2, exec_lo
	v_cmpx_gt_i64_e64 s[18:19], v[12:13]
	s_cbranch_execz .LBB7_94
; %bb.6:
	v_alignbit_b32 v17, v3, v2, 2
	v_mad_u64_u32 v[6:7], null, 0xcd9e8d57, v12, 0
	v_lshrrev_b32_e32 v18, 2, v3
	s_waitcnt vmcnt(0)
	v_dual_mov_b32 v16, v11 :: v_dual_add_nc_u32 v27, 0x96a522ad, v11
	v_mad_u64_u32 v[4:5], null, 0xd2511f53, v17, 0
	v_add_co_u32 v20, null, 0x9e3779b9, v10
	v_xor3_b32 v3, v10, v7, v18
	s_delay_alu instid0(VALU_DEP_4) | instskip(SKIP_2) | instid1(VALU_DEP_4)
	v_add_co_u32 v19, null, 0xbb67ae85, v16
	v_add_co_u32 v21, null, 0x3c6ef372, v10
	v_xor_b32_e32 v0, v5, v11
	v_mad_u64_u32 v[7:8], null, 0xd2511f53, v3, 0
	v_add_co_u32 v22, null, 0x76cf5d0a, v16
	s_delay_alu instid0(VALU_DEP_3) | instskip(SKIP_2) | instid1(VALU_DEP_3)
	v_xor_b32_e32 v0, v0, v13
	v_add_co_u32 v23, null, 0x32370b8f, v16
	v_add_co_u32 v25, null, 0xdaa66d2b, v10
	v_mad_u64_u32 v[14:15], null, 0xcd9e8d57, v0, 0
	v_xor3_b32 v0, v19, v8, v4
	v_and_b32_e32 v24, 3, v2
	v_add_co_u32 v28, null, 0x78dde6e4, v10
	v_add_co_u32 v30, null, 0xed9eba14, v16
	v_xor3_b32 v8, v20, v15, v6
	v_mad_u64_u32 v[3:4], null, 0xcd9e8d57, v0, 0
	v_add_co_u32 v31, null, 0x1715609d, v10
	s_delay_alu instid0(VALU_DEP_3) | instskip(SKIP_1) | instid1(VALU_DEP_4)
	v_mad_u64_u32 v[5:6], null, 0xd2511f53, v8, 0
	v_add_co_u32 v32, null, 0xa9066899, v16
	v_xor3_b32 v0, v21, v4, v14
	v_add_co_u32 v33, null, 0xb54cda56, v10
	v_add_co_u32 v35, null, 0x646e171e, v16
	v_xor3_b32 v4, v22, v6, v7
	s_delay_alu instid0(VALU_DEP_4) | instskip(SKIP_2) | instid1(VALU_DEP_3)
	v_mad_u64_u32 v[6:7], null, 0xd2511f53, v0, 0
	s_load_b256 s[4:11], s[0:1], 0x30
	v_add_co_u32 v29, null, 0x5384540f, v10
	v_mad_u64_u32 v[8:9], null, 0xcd9e8d57, v4, 0
	v_add_co_u32 v36, null, 0x1fd5c5a3, v16
	s_delay_alu instid0(VALU_DEP_4) | instskip(SKIP_3) | instid1(VALU_DEP_4)
	v_xor3_b32 v0, v23, v7, v5
	v_add_co_u32 v34, null, 0xf1bbcdc8, v10
	v_add_co_u32 v37, null, 0xdb3d7428, v16
	v_xor3_b32 v7, v25, v9, v3
	v_mad_u64_u32 v[2:3], null, 0xcd9e8d57, v0, 0
	s_add_u32 s20, s0, 48
	s_clause 0x1
	s_load_b64 s[22:23], s[0:1], 0xf4
	s_load_b128 s[12:15], s[0:1], 0x138
	v_mad_u64_u32 v[4:5], null, 0xd2511f53, v7, 0
	s_addc_u32 s21, s1, 0
	s_waitcnt lgkmcnt(0)
	s_add_i32 s2, s4, -1
	v_xor3_b32 v0, v28, v3, v8
	s_cmp_gt_u32 s2, 1
	v_add_nc_u32_e32 v26, 0x8ff34781, v10
	s_cselect_b32 s11, -1, 0
	v_xor3_b32 v3, v30, v5, v6
	v_mad_u64_u32 v[5:6], null, 0xd2511f53, v0, 0
	s_cmp_lg_u32 s4, 0
	v_mov_b32_e32 v38, v12
	s_delay_alu instid0(VALU_DEP_3) | instskip(SKIP_2) | instid1(VALU_DEP_3)
	v_mad_u64_u32 v[7:8], null, 0xcd9e8d57, v3, 0
	s_cselect_b32 s30, -1, 0
	s_add_u32 s24, s0, 0xf4
	v_xor3_b32 v0, v32, v6, v4
	s_addc_u32 s25, s1, 0
	s_min_u32 s0, s2, 15
	s_cmp_gt_u32 s4, 1
	s_delay_alu instid0(VALU_DEP_2) | instskip(SKIP_3) | instid1(VALU_DEP_2)
	v_xor3_b32 v4, v31, v8, v2
	v_mad_u64_u32 v[2:3], null, 0xcd9e8d57, v0, 0
	s_cselect_b32 s4, -1, 0
	s_add_i32 s0, s0, 1
	v_mad_u64_u32 v[8:9], null, 0xd2511f53, v4, 0
	s_lshl_b32 s31, s26, 1
	s_and_b32 s33, s0, 3
	s_delay_alu instid0(VALU_DEP_2) | instskip(SKIP_3) | instid1(VALU_DEP_2)
	v_xor3_b32 v0, v33, v3, v7
	s_cmp_lg_u32 s2, 2
	s_mov_b32 s28, 0
	s_cselect_b32 s34, -1, 0
	v_xor3_b32 v7, v35, v9, v5
	v_mad_u64_u32 v[3:4], null, 0xd2511f53, v0, 0
	s_and_b32 s35, s0, 28
	s_cmp_lg_u32 s33, 0
	s_delay_alu instid0(VALU_DEP_2) | instskip(SKIP_2) | instid1(VALU_DEP_2)
	v_mad_u64_u32 v[5:6], null, 0xcd9e8d57, v7, 0
	s_mul_i32 s29, s26, 3
	s_cselect_b32 s36, -1, 0
	v_xor3_b32 v0, v36, v4, v8
	s_mov_b32 s37, 0x7fffff
	s_mov_b32 s38, 0xbc8cedd3
	;; [unrolled: 1-line block ×3, first 2 shown]
	s_delay_alu instid0(VALU_DEP_2) | instskip(SKIP_1) | instid1(VALU_DEP_2)
	v_xor3_b32 v2, v29, v6, v2
	v_mad_u64_u32 v[14:15], null, 0xcd9e8d57, v0, 0
	v_mad_u64_u32 v[39:40], null, 0xd2511f53, v2, 0
	s_delay_alu instid0(VALU_DEP_2) | instskip(NEXT) | instid1(VALU_DEP_2)
	v_xor3_b32 v0, v34, v15, v5
	v_xor3_b32 v4, v37, v40, v3
	s_delay_alu instid0(VALU_DEP_2) | instskip(NEXT) | instid1(VALU_DEP_2)
	v_mad_u64_u32 v[2:3], null, 0xd2511f53, v0, 0
	v_mad_u64_u32 v[6:7], null, 0xcd9e8d57, v4, 0
	s_delay_alu instid0(VALU_DEP_2) | instskip(NEXT) | instid1(VALU_DEP_2)
	v_mov_b32_e32 v8, v2
	v_xor3_b32 v5, v7, v14, v26
	s_delay_alu instid0(VALU_DEP_4)
	v_xor3_b32 v7, v3, v39, v27
	v_mov_b32_e32 v39, v13
	s_branch .LBB7_9
.LBB7_7:                                ;   in Loop: Header=BB7_9 Depth=1
	s_or_b32 exec_lo, exec_lo, s0
	s_delay_alu instid0(VALU_DEP_2) | instskip(NEXT) | instid1(VALU_DEP_1)
	v_mul_f32_e32 v9, v0, v0
	v_dual_fmaak_f32 v15, s39, v9, 0xbf039337 :: v_dual_and_b32 v8, 1, v8
	v_fmaak_f32 v16, s38, v9, 0x3ec54587
	s_delay_alu instid0(VALU_DEP_2) | instskip(NEXT) | instid1(VALU_DEP_3)
	v_cmp_eq_u32_e32 vcc_lo, 0, v8
	v_fmaak_f32 v15, v9, v15, 0x3f93f425
	s_delay_alu instid0(VALU_DEP_1) | instskip(SKIP_2) | instid1(VALU_DEP_1)
	v_rcp_f32_e32 v15, v15
	s_waitcnt_depctr 0xfff
	v_mul_f32_e32 v15, v16, v15
	v_mul_f32_e32 v9, v9, v15
	s_delay_alu instid0(VALU_DEP_1) | instskip(NEXT) | instid1(VALU_DEP_1)
	v_fma_f32 v15, v9, v0, v0
	v_rcp_f32_e32 v16, v15
	v_sub_f32_e32 v40, v15, v0
	s_delay_alu instid0(VALU_DEP_1) | instskip(SKIP_2) | instid1(VALU_DEP_1)
	v_fma_f32 v0, v9, v0, -v40
	s_waitcnt_depctr 0xfff
	v_fma_f32 v9, v15, -v16, 1.0
	v_fma_f32 v0, v0, -v16, v9
	s_delay_alu instid0(VALU_DEP_1) | instskip(NEXT) | instid1(VALU_DEP_1)
	v_fma_f32 v0, v0, -v16, -v16
	v_cndmask_b32_e32 v0, v0, v15, vcc_lo
	v_cmp_class_f32_e64 vcc_lo, v6, 0x1f8
	s_delay_alu instid0(VALU_DEP_2) | instskip(NEXT) | instid1(VALU_DEP_1)
	v_xor3_b32 v0, v7, v6, v0
	v_cndmask_b32_e32 v0, 0x7fc00000, v0, vcc_lo
	s_delay_alu instid0(VALU_DEP_1)
	v_fma_f32 v0, s15, v0, s14
	global_store_b32 v5, v0, s[12:13]
.LBB7_8:                                ;   in Loop: Header=BB7_9 Depth=1
	s_or_b32 exec_lo, exec_lo, s40
	v_add_co_u32 v12, vcc_lo, v12, s27
	v_add_co_ci_u32_e32 v13, vcc_lo, 0, v13, vcc_lo
	v_mov_b32_e32 v5, v14
	s_waitcnt_vscnt null, 0x0
	s_barrier
	s_delay_alu instid0(VALU_DEP_2)
	v_cmp_le_i64_e32 vcc_lo, s[18:19], v[12:13]
	buffer_gl0_inv
	v_mov_b32_e32 v8, v5
	v_dual_mov_b32 v7, v4 :: v_dual_mov_b32 v6, v3
	v_mov_b32_e32 v5, v2
	s_or_b32 s28, vcc_lo, s28
	s_delay_alu instid0(SALU_CYCLE_1)
	s_and_not1_b32 exec_lo, exec_lo, s28
	s_cbranch_execz .LBB7_94
.LBB7_9:                                ; =>This Loop Header: Depth=1
                                        ;     Child Loop BB7_24 Depth 2
                                        ;     Child Loop BB7_29 Depth 2
	;; [unrolled: 1-line block ×8, first 2 shown]
	v_add_co_u32 v17, vcc_lo, v17, 1
	s_delay_alu instid0(VALU_DEP_1) | instskip(SKIP_1) | instid1(VALU_DEP_3)
	v_cndmask_b32_e64 v0, 0, 1, vcc_lo
	v_add_co_ci_u32_e32 v18, vcc_lo, 0, v18, vcc_lo
	v_mad_u64_u32 v[2:3], null, 0xd2511f53, v17, 0
	s_mov_b32 s0, exec_lo
	s_delay_alu instid0(VALU_DEP_2) | instskip(SKIP_1) | instid1(VALU_DEP_1)
	v_cmp_eq_u32_e32 vcc_lo, 0, v18
	v_cndmask_b32_e32 v0, 0, v0, vcc_lo
	v_add_nc_u32_e32 v38, v0, v38
	s_delay_alu instid0(VALU_DEP_1) | instskip(SKIP_2) | instid1(VALU_DEP_2)
	v_cmp_eq_u32_e32 vcc_lo, 0, v38
	v_mad_u64_u32 v[14:15], null, 0xcd9e8d57, v38, 0
	v_cndmask_b32_e32 v0, 0, v0, vcc_lo
	v_xor3_b32 v9, v15, v10, v18
	s_delay_alu instid0(VALU_DEP_2) | instskip(SKIP_1) | instid1(VALU_DEP_3)
	v_add_nc_u32_e32 v39, v0, v39
	v_xor_b32_e32 v0, v3, v11
	v_mad_u64_u32 v[3:4], null, 0xd2511f53, v9, 0
	s_delay_alu instid0(VALU_DEP_2) | instskip(NEXT) | instid1(VALU_DEP_1)
	v_xor_b32_e32 v0, v39, v0
	v_mad_u64_u32 v[15:16], null, 0xcd9e8d57, v0, 0
	s_delay_alu instid0(VALU_DEP_3) | instskip(NEXT) | instid1(VALU_DEP_1)
	v_xor3_b32 v0, v19, v4, v2
	v_mad_u64_u32 v[40:41], null, 0xcd9e8d57, v0, 0
	s_delay_alu instid0(VALU_DEP_3) | instskip(NEXT) | instid1(VALU_DEP_1)
	v_xor3_b32 v2, v20, v16, v14
	v_mad_u64_u32 v[42:43], null, 0xd2511f53, v2, 0
	s_delay_alu instid0(VALU_DEP_3) | instskip(NEXT) | instid1(VALU_DEP_2)
	v_xor3_b32 v0, v21, v41, v15
	v_xor3_b32 v4, v22, v43, v3
	s_delay_alu instid0(VALU_DEP_2) | instskip(NEXT) | instid1(VALU_DEP_2)
	v_mad_u64_u32 v[2:3], null, 0xd2511f53, v0, 0
	v_mad_u64_u32 v[14:15], null, 0xcd9e8d57, v4, 0
	s_delay_alu instid0(VALU_DEP_2) | instskip(NEXT) | instid1(VALU_DEP_2)
	v_xor3_b32 v0, v23, v3, v42
	v_xor3_b32 v9, v25, v15, v40
	s_delay_alu instid0(VALU_DEP_2) | instskip(NEXT) | instid1(VALU_DEP_2)
	v_mad_u64_u32 v[3:4], null, 0xcd9e8d57, v0, 0
	v_mad_u64_u32 v[15:16], null, 0xd2511f53, v9, 0
	s_delay_alu instid0(VALU_DEP_2) | instskip(NEXT) | instid1(VALU_DEP_2)
	v_xor3_b32 v0, v28, v4, v14
	v_xor3_b32 v2, v30, v16, v2
	s_delay_alu instid0(VALU_DEP_2) | instskip(NEXT) | instid1(VALU_DEP_2)
	v_mad_u64_u32 v[40:41], null, 0xd2511f53, v0, 0
	v_mad_u64_u32 v[42:43], null, 0xcd9e8d57, v2, 0
	s_delay_alu instid0(VALU_DEP_2) | instskip(NEXT) | instid1(VALU_DEP_2)
	v_xor3_b32 v0, v32, v41, v15
	v_xor3_b32 v4, v31, v43, v3
	s_delay_alu instid0(VALU_DEP_2) | instskip(NEXT) | instid1(VALU_DEP_2)
	v_mad_u64_u32 v[2:3], null, 0xcd9e8d57, v0, 0
	v_mad_u64_u32 v[14:15], null, 0xd2511f53, v4, 0
	s_delay_alu instid0(VALU_DEP_2) | instskip(NEXT) | instid1(VALU_DEP_2)
	v_xor3_b32 v0, v33, v3, v42
	v_xor3_b32 v9, v35, v15, v40
	s_delay_alu instid0(VALU_DEP_2) | instskip(NEXT) | instid1(VALU_DEP_2)
	v_mad_u64_u32 v[3:4], null, 0xd2511f53, v0, 0
	v_mad_u64_u32 v[15:16], null, 0xcd9e8d57, v9, 0
	s_delay_alu instid0(VALU_DEP_2) | instskip(NEXT) | instid1(VALU_DEP_2)
	v_xor3_b32 v0, v36, v4, v14
	v_xor3_b32 v2, v29, v16, v2
	s_delay_alu instid0(VALU_DEP_2) | instskip(NEXT) | instid1(VALU_DEP_2)
	v_mad_u64_u32 v[40:41], null, 0xcd9e8d57, v0, 0
	v_mad_u64_u32 v[42:43], null, 0xd2511f53, v2, 0
	s_delay_alu instid0(VALU_DEP_2) | instskip(NEXT) | instid1(VALU_DEP_2)
	v_xor3_b32 v0, v34, v41, v15
	v_xor3_b32 v2, v37, v43, v3
	s_delay_alu instid0(VALU_DEP_2) | instskip(NEXT) | instid1(VALU_DEP_2)
	v_mad_u64_u32 v[14:15], null, 0xd2511f53, v0, 0
	v_mad_u64_u32 v[3:4], null, 0xcd9e8d57, v2, 0
	s_delay_alu instid0(VALU_DEP_2) | instskip(NEXT) | instid1(VALU_DEP_2)
	v_xor3_b32 v9, v15, v42, v27
	v_xor3_b32 v2, v4, v40, v26
	s_delay_alu instid0(VALU_DEP_2)
	v_mov_b32_e32 v4, v9
	v_cmpx_lt_i32_e32 1, v24
	s_xor_b32 s0, exec_lo, s0
	s_cbranch_execnz .LBB7_12
; %bb.10:                               ;   in Loop: Header=BB7_9 Depth=1
	s_and_not1_saveexec_b32 s0, s0
	s_cbranch_execnz .LBB7_17
.LBB7_11:                               ;   in Loop: Header=BB7_9 Depth=1
	s_or_b32 exec_lo, exec_lo, s0
	s_delay_alu instid0(SALU_CYCLE_1)
	s_mov_b32 s40, exec_lo
	v_cmpx_gt_i64_e64 s[16:17], v[12:13]
	s_cbranch_execnz .LBB7_20
	s_branch .LBB7_38
.LBB7_12:                               ;   in Loop: Header=BB7_9 Depth=1
	s_mov_b32 s1, exec_lo
	v_cmpx_lt_i32_e32 2, v24
	s_xor_b32 s1, exec_lo, s1
; %bb.13:                               ;   in Loop: Header=BB7_9 Depth=1
	v_dual_mov_b32 v6, v8 :: v_dual_mov_b32 v7, v2
	v_mov_b32_e32 v8, v3
	s_delay_alu instid0(VALU_DEP_2) | instskip(NEXT) | instid1(VALU_DEP_3)
	v_mov_b32_e32 v5, v6
	v_mov_b32_e32 v6, v7
	s_delay_alu instid0(VALU_DEP_3)
	v_mov_b32_e32 v7, v8
	v_mov_b32_e32 v8, v9
; %bb.14:                               ;   in Loop: Header=BB7_9 Depth=1
	s_and_not1_saveexec_b32 s1, s1
; %bb.15:                               ;   in Loop: Header=BB7_9 Depth=1
	s_delay_alu instid0(VALU_DEP_1)
	v_dual_mov_b32 v5, v7 :: v_dual_mov_b32 v6, v8
	v_dual_mov_b32 v7, v2 :: v_dual_mov_b32 v8, v3
; %bb.16:                               ;   in Loop: Header=BB7_9 Depth=1
	s_or_b32 exec_lo, exec_lo, s1
	s_and_not1_saveexec_b32 s0, s0
	s_cbranch_execz .LBB7_11
.LBB7_17:                               ;   in Loop: Header=BB7_9 Depth=1
	s_mov_b32 s1, exec_lo
	v_cmpx_eq_u32_e32 1, v24
; %bb.18:                               ;   in Loop: Header=BB7_9 Depth=1
	v_dual_mov_b32 v5, v6 :: v_dual_mov_b32 v6, v7
	v_dual_mov_b32 v7, v8 :: v_dual_mov_b32 v8, v2
; %bb.19:                               ;   in Loop: Header=BB7_9 Depth=1
	s_or_b32 exec_lo, exec_lo, s1
	s_delay_alu instid0(SALU_CYCLE_1) | instskip(NEXT) | instid1(SALU_CYCLE_1)
	s_or_b32 exec_lo, exec_lo, s0
	s_mov_b32 s40, exec_lo
	v_cmpx_gt_i64_e64 s[16:17], v[12:13]
	s_cbranch_execz .LBB7_38
.LBB7_20:                               ;   in Loop: Header=BB7_9 Depth=1
	s_and_not1_b32 vcc_lo, exec_lo, s11
	s_cbranch_vccnz .LBB7_26
; %bb.21:                               ;   in Loop: Header=BB7_9 Depth=1
	v_mov_b32_e32 v9, 0
	s_and_not1_b32 vcc_lo, exec_lo, s30
	s_cbranch_vccnz .LBB7_30
; %bb.22:                               ;   in Loop: Header=BB7_9 Depth=1
	s_and_not1_b32 vcc_lo, exec_lo, s34
	s_mov_b32 s0, 0
	s_cbranch_vccnz .LBB7_27
; %bb.23:                               ;   in Loop: Header=BB7_9 Depth=1
	v_dual_mov_b32 v9, 0 :: v_dual_mov_b32 v0, v12
	s_mov_b32 s41, 0
	s_mov_b64 s[0:1], s[20:21]
	s_mov_b64 s[2:3], s[24:25]
.LBB7_24:                               ;   Parent Loop BB7_9 Depth=1
                                        ; =>  This Inner Loop Header: Depth=2
	s_clause 0x1
	s_load_b256 s[44:51], s[0:1], 0x4
	s_load_b128 s[52:55], s[0:1], 0x24
	s_load_b128 s[56:59], s[2:3], 0x0
	s_add_u32 s0, s0, 48
	s_addc_u32 s1, s1, 0
	s_add_i32 s41, s41, 4
	s_add_u32 s2, s2, 16
	s_addc_u32 s3, s3, 0
	s_cmp_lg_u32 s35, s41
	s_waitcnt lgkmcnt(0)
	v_mul_hi_u32 v15, s45, v0
	s_delay_alu instid0(VALU_DEP_1) | instskip(NEXT) | instid1(VALU_DEP_1)
	v_add_nc_u32_e32 v15, v0, v15
	v_lshrrev_b32_e32 v15, s46, v15
	s_delay_alu instid0(VALU_DEP_1) | instskip(SKIP_1) | instid1(VALU_DEP_2)
	v_mul_hi_u32 v16, s48, v15
	v_mul_lo_u32 v42, v15, s44
	v_add_nc_u32_e32 v16, v15, v16
	s_delay_alu instid0(VALU_DEP_2) | instskip(NEXT) | instid1(VALU_DEP_2)
	v_sub_nc_u32_e32 v42, v0, v42
	v_lshrrev_b32_e32 v16, s49, v16
	s_delay_alu instid0(VALU_DEP_2) | instskip(NEXT) | instid1(VALU_DEP_2)
	v_mul_lo_u32 v42, v42, s56
	v_mul_hi_u32 v40, s51, v16
	v_mul_lo_u32 v43, v16, s47
	s_delay_alu instid0(VALU_DEP_2) | instskip(NEXT) | instid1(VALU_DEP_2)
	v_add_nc_u32_e32 v40, v16, v40
	v_sub_nc_u32_e32 v15, v15, v43
	s_delay_alu instid0(VALU_DEP_2) | instskip(NEXT) | instid1(VALU_DEP_2)
	v_lshrrev_b32_e32 v40, s52, v40
	v_mul_lo_u32 v15, v15, s57
	s_delay_alu instid0(VALU_DEP_2) | instskip(NEXT) | instid1(VALU_DEP_2)
	v_mul_hi_u32 v41, s54, v40
	v_add3_u32 v9, v42, v9, v15
	s_delay_alu instid0(VALU_DEP_2) | instskip(NEXT) | instid1(VALU_DEP_1)
	v_add_nc_u32_e32 v41, v40, v41
	v_lshrrev_b32_e32 v0, s55, v41
	v_mul_lo_u32 v41, v40, s50
	s_delay_alu instid0(VALU_DEP_2) | instskip(NEXT) | instid1(VALU_DEP_2)
	v_mul_lo_u32 v44, v0, s53
	v_sub_nc_u32_e32 v16, v16, v41
	s_delay_alu instid0(VALU_DEP_2) | instskip(NEXT) | instid1(VALU_DEP_2)
	v_sub_nc_u32_e32 v40, v40, v44
	v_mul_lo_u32 v16, v16, s58
	s_delay_alu instid0(VALU_DEP_2) | instskip(NEXT) | instid1(VALU_DEP_1)
	v_mul_lo_u32 v40, v40, s59
	v_add3_u32 v9, v16, v9, v40
	s_cbranch_scc1 .LBB7_24
; %bb.25:                               ;   in Loop: Header=BB7_9 Depth=1
	s_mov_b32 s0, s35
	s_and_not1_b32 vcc_lo, exec_lo, s36
	s_cbranch_vccz .LBB7_28
	s_branch .LBB7_30
.LBB7_26:                               ;   in Loop: Header=BB7_9 Depth=1
                                        ; implicit-def: $vgpr9
	s_branch .LBB7_31
.LBB7_27:                               ;   in Loop: Header=BB7_9 Depth=1
	v_mov_b32_e32 v0, v12
	s_and_not1_b32 vcc_lo, exec_lo, s36
	s_cbranch_vccnz .LBB7_30
.LBB7_28:                               ;   in Loop: Header=BB7_9 Depth=1
	s_lshl_b32 s1, s0, 2
	s_mul_i32 s2, s0, 12
	s_add_u32 s0, s24, s1
	s_addc_u32 s1, s25, 0
	s_add_u32 s2, s20, s2
	s_addc_u32 s3, s21, 0
	s_mov_b32 s41, s33
	.p2align	6
.LBB7_29:                               ;   Parent Loop BB7_9 Depth=1
                                        ; =>  This Inner Loop Header: Depth=2
	s_clause 0x1
	s_load_b64 s[42:43], s[2:3], 0x4
	s_load_b32 s44, s[2:3], 0xc
	s_add_u32 s2, s2, 12
	s_addc_u32 s3, s3, 0
	s_waitcnt lgkmcnt(0)
	v_mul_hi_u32 v15, s43, v0
	s_load_b32 s43, s[0:1], 0x0
	s_add_u32 s0, s0, 4
	s_addc_u32 s1, s1, 0
	s_add_i32 s41, s41, -1
	s_delay_alu instid0(SALU_CYCLE_1) | instskip(NEXT) | instid1(VALU_DEP_1)
	s_cmp_lg_u32 s41, 0
	v_add_nc_u32_e32 v15, v0, v15
	s_delay_alu instid0(VALU_DEP_1) | instskip(NEXT) | instid1(VALU_DEP_1)
	v_lshrrev_b32_e32 v40, s44, v15
	v_mul_lo_u32 v15, v40, s42
	s_delay_alu instid0(VALU_DEP_1) | instskip(SKIP_1) | instid1(VALU_DEP_1)
	v_sub_nc_u32_e32 v0, v0, v15
	s_waitcnt lgkmcnt(0)
	v_mad_u64_u32 v[15:16], null, v0, s43, v[9:10]
	s_delay_alu instid0(VALU_DEP_1)
	v_dual_mov_b32 v0, v40 :: v_dual_mov_b32 v9, v15
	s_cbranch_scc1 .LBB7_29
.LBB7_30:                               ;   in Loop: Header=BB7_9 Depth=1
	s_cbranch_execnz .LBB7_33
.LBB7_31:                               ;   in Loop: Header=BB7_9 Depth=1
	v_mul_hi_u32 v0, v12, s6
	s_and_not1_b32 vcc_lo, exec_lo, s4
	s_delay_alu instid0(VALU_DEP_1) | instskip(NEXT) | instid1(VALU_DEP_1)
	v_add_nc_u32_e32 v0, v0, v12
	v_lshrrev_b32_e32 v0, s7, v0
	s_delay_alu instid0(VALU_DEP_1) | instskip(NEXT) | instid1(VALU_DEP_1)
	v_mul_lo_u32 v9, v0, s5
	v_sub_nc_u32_e32 v9, v12, v9
	s_delay_alu instid0(VALU_DEP_1)
	v_mul_lo_u32 v9, v9, s22
	s_cbranch_vccnz .LBB7_33
; %bb.32:                               ;   in Loop: Header=BB7_9 Depth=1
	v_mul_hi_u32 v15, s9, v0
	s_delay_alu instid0(VALU_DEP_1) | instskip(NEXT) | instid1(VALU_DEP_1)
	v_add_nc_u32_e32 v15, v0, v15
	v_lshrrev_b32_e32 v15, s10, v15
	s_delay_alu instid0(VALU_DEP_1) | instskip(NEXT) | instid1(VALU_DEP_1)
	v_mul_lo_u32 v15, v15, s8
	v_sub_nc_u32_e32 v0, v0, v15
	s_delay_alu instid0(VALU_DEP_1) | instskip(NEXT) | instid1(VALU_DEP_1)
	v_mad_u64_u32 v[15:16], null, v0, s23, v[9:10]
	v_mov_b32_e32 v9, v15
.LBB7_33:                               ;   in Loop: Header=BB7_9 Depth=1
	v_cvt_f32_u32_e32 v0, v5
                                        ; implicit-def: $vgpr16
	s_mov_b32 s1, exec_lo
	s_delay_alu instid0(VALU_DEP_1) | instskip(NEXT) | instid1(VALU_DEP_1)
	v_fmaak_f32 v0, 0x2f800000, v0, 0x2f800000
	v_cmp_nlt_f32_e32 vcc_lo, 0x3f7ffffe, v0
	v_cndmask_b32_e32 v0, 0x3f7ffffe, v0, vcc_lo
	s_delay_alu instid0(VALU_DEP_1) | instskip(SKIP_1) | instid1(VALU_DEP_1)
	v_cmp_ngt_f32_e32 vcc_lo, 0x34000000, v0
	v_cndmask_b32_e32 v0, 0x34000000, v0, vcc_lo
	v_add_f32_e32 v0, -0.5, v0
	s_delay_alu instid0(VALU_DEP_1) | instskip(NEXT) | instid1(VALU_DEP_1)
	v_mul_f32_e32 v5, 0x40490fdb, v0
                                        ; implicit-def: $vgpr0
	v_and_b32_e32 v15, 0x7fffffff, v5
	v_cmpx_ngt_f32_e64 0x48000000, |v5|
	s_xor_b32 s3, exec_lo, s1
	s_cbranch_execz .LBB7_35
; %bb.34:                               ;   in Loop: Header=BB7_9 Depth=1
	s_delay_alu instid0(VALU_DEP_2) | instskip(SKIP_1) | instid1(VALU_DEP_2)
	v_lshrrev_b32_e32 v45, 23, v15
	v_and_or_b32 v16, v15, s37, 0x800000
	v_add_nc_u32_e32 v46, 0xffffff88, v45
	s_delay_alu instid0(VALU_DEP_2) | instskip(NEXT) | instid1(VALU_DEP_2)
	v_mad_u64_u32 v[40:41], null, 0xfe5163ab, v16, 0
	v_cmp_lt_u32_e32 vcc_lo, 63, v46
	v_cndmask_b32_e64 v47, 0, 0xffffffc0, vcc_lo
	s_delay_alu instid0(VALU_DEP_1) | instskip(NEXT) | instid1(VALU_DEP_1)
	v_dual_mov_b32 v0, v41 :: v_dual_add_nc_u32 v47, v47, v46
	v_mad_u64_u32 v[41:42], null, 0x3c439041, v16, v[0:1]
	s_delay_alu instid0(VALU_DEP_2) | instskip(NEXT) | instid1(VALU_DEP_2)
	v_cmp_lt_u32_e64 s0, 31, v47
	v_mov_b32_e32 v0, v42
	s_delay_alu instid0(VALU_DEP_2) | instskip(NEXT) | instid1(VALU_DEP_2)
	v_cndmask_b32_e64 v48, 0, 0xffffffe0, s0
	v_mad_u64_u32 v[42:43], null, 0xdb629599, v16, v[0:1]
	s_delay_alu instid0(VALU_DEP_2) | instskip(NEXT) | instid1(VALU_DEP_1)
	v_add_nc_u32_e32 v48, v48, v47
	v_cmp_lt_u32_e64 s1, 31, v48
	s_delay_alu instid0(VALU_DEP_3) | instskip(NEXT) | instid1(VALU_DEP_4)
	v_mov_b32_e32 v0, v43
	v_cndmask_b32_e32 v40, v42, v40, vcc_lo
	s_delay_alu instid0(VALU_DEP_2) | instskip(NEXT) | instid1(VALU_DEP_1)
	v_mad_u64_u32 v[43:44], null, 0xf534ddc0, v16, v[0:1]
	v_dual_mov_b32 v0, v44 :: v_dual_cndmask_b32 v41, v43, v41
	s_delay_alu instid0(VALU_DEP_1) | instskip(NEXT) | instid1(VALU_DEP_2)
	v_mad_u64_u32 v[44:45], null, 0xfc2757d1, v16, v[0:1]
	v_cndmask_b32_e64 v40, v41, v40, s0
	s_delay_alu instid0(VALU_DEP_2) | instskip(NEXT) | instid1(VALU_DEP_1)
	v_mov_b32_e32 v0, v45
	v_mad_u64_u32 v[45:46], null, 0x4e441529, v16, v[0:1]
	s_delay_alu instid0(VALU_DEP_1) | instskip(NEXT) | instid1(VALU_DEP_1)
	v_mov_b32_e32 v0, v46
	v_mad_u64_u32 v[46:47], null, 0xa2f9836e, v16, v[0:1]
	v_cndmask_b32_e64 v0, 0, 0xffffffe0, s1
	s_delay_alu instid0(VALU_DEP_4) | instskip(NEXT) | instid1(VALU_DEP_2)
	v_cndmask_b32_e32 v16, v45, v43, vcc_lo
	v_add_nc_u32_e32 v0, v0, v48
	s_delay_alu instid0(VALU_DEP_4) | instskip(SKIP_1) | instid1(VALU_DEP_3)
	v_dual_cndmask_b32 v46, v46, v44 :: v_dual_cndmask_b32 v45, v47, v45
	v_cndmask_b32_e32 v44, v44, v42, vcc_lo
	v_cmp_eq_u32_e64 s2, 0, v0
	s_delay_alu instid0(VALU_DEP_3) | instskip(NEXT) | instid1(VALU_DEP_4)
	v_cndmask_b32_e64 v43, v46, v16, s0
	v_cndmask_b32_e64 v45, v45, v46, s0
	s_delay_alu instid0(VALU_DEP_4) | instskip(SKIP_2) | instid1(VALU_DEP_4)
	v_cndmask_b32_e64 v16, v16, v44, s0
	v_sub_nc_u32_e32 v46, 32, v0
	v_cndmask_b32_e64 v44, v44, v41, s0
	v_cndmask_b32_e64 v45, v45, v43, s1
	s_delay_alu instid0(VALU_DEP_4) | instskip(NEXT) | instid1(VALU_DEP_3)
	v_cndmask_b32_e64 v43, v43, v16, s1
	v_cndmask_b32_e64 v16, v16, v44, s1
	;; [unrolled: 1-line block ×3, first 2 shown]
	s_delay_alu instid0(VALU_DEP_3) | instskip(NEXT) | instid1(VALU_DEP_3)
	v_alignbit_b32 v47, v45, v43, v46
	v_alignbit_b32 v48, v43, v16, v46
	s_delay_alu instid0(VALU_DEP_3) | instskip(NEXT) | instid1(VALU_DEP_3)
	v_alignbit_b32 v46, v16, v40, v46
	v_cndmask_b32_e64 v0, v47, v45, s2
	s_delay_alu instid0(VALU_DEP_3) | instskip(NEXT) | instid1(VALU_DEP_3)
	v_cndmask_b32_e64 v42, v48, v43, s2
	v_cndmask_b32_e64 v16, v46, v16, s2
	s_delay_alu instid0(VALU_DEP_3) | instskip(NEXT) | instid1(VALU_DEP_3)
	v_bfe_u32 v43, v0, 29, 1
	v_alignbit_b32 v41, v0, v42, 30
	s_delay_alu instid0(VALU_DEP_3) | instskip(SKIP_1) | instid1(VALU_DEP_4)
	v_alignbit_b32 v42, v42, v16, 30
	v_alignbit_b32 v16, v16, v40, 30
	v_sub_nc_u32_e32 v45, 0, v43
	s_delay_alu instid0(VALU_DEP_1) | instskip(SKIP_3) | instid1(VALU_DEP_4)
	v_xor_b32_e32 v44, v41, v45
	v_cmp_ne_u32_e32 vcc_lo, v41, v45
	v_xor_b32_e32 v40, v42, v45
	v_xor_b32_e32 v16, v16, v45
	v_clz_i32_u32_e32 v47, v44
	s_delay_alu instid0(VALU_DEP_1) | instskip(NEXT) | instid1(VALU_DEP_1)
	v_add_nc_u32_e32 v46, 1, v47
	v_cndmask_b32_e32 v41, 33, v46, vcc_lo
	s_delay_alu instid0(VALU_DEP_1) | instskip(NEXT) | instid1(VALU_DEP_1)
	v_sub_nc_u32_e32 v42, 32, v41
	v_alignbit_b32 v44, v44, v40, v42
	v_alignbit_b32 v16, v40, v16, v42
	v_lshrrev_b32_e32 v40, 29, v0
	s_delay_alu instid0(VALU_DEP_2) | instskip(NEXT) | instid1(VALU_DEP_2)
	v_alignbit_b32 v42, v44, v16, 9
	v_lshlrev_b32_e32 v40, 31, v40
	v_alignbit_b32 v44, v41, v44, 9
	s_delay_alu instid0(VALU_DEP_3) | instskip(NEXT) | instid1(VALU_DEP_2)
	v_clz_i32_u32_e32 v45, v42
	v_or_b32_e32 v44, v44, v40
	v_or_b32_e32 v40, 0x33800000, v40
	s_delay_alu instid0(VALU_DEP_3) | instskip(NEXT) | instid1(VALU_DEP_3)
	v_min_u32_e32 v45, 32, v45
	v_xor_b32_e32 v44, 1.0, v44
	s_delay_alu instid0(VALU_DEP_2) | instskip(SKIP_1) | instid1(VALU_DEP_3)
	v_sub_nc_u32_e32 v46, 31, v45
	v_add_lshl_u32 v41, v45, v41, 23
	v_mul_f32_e32 v45, 0x3fc90fda, v44
	s_delay_alu instid0(VALU_DEP_3) | instskip(NEXT) | instid1(VALU_DEP_3)
	v_alignbit_b32 v16, v42, v16, v46
	v_sub_nc_u32_e32 v40, v40, v41
	s_delay_alu instid0(VALU_DEP_3) | instskip(NEXT) | instid1(VALU_DEP_3)
	v_fma_f32 v41, 0x3fc90fda, v44, -v45
	v_lshrrev_b32_e32 v16, 9, v16
	s_delay_alu instid0(VALU_DEP_2) | instskip(NEXT) | instid1(VALU_DEP_2)
	v_fmac_f32_e32 v41, 0x33a22168, v44
	v_or_b32_e32 v16, v40, v16
	s_delay_alu instid0(VALU_DEP_1) | instskip(SKIP_1) | instid1(VALU_DEP_2)
	v_fmac_f32_e32 v41, 0x3fc90fda, v16
	v_lshrrev_b32_e32 v16, 30, v0
	v_add_f32_e32 v0, v45, v41
	s_delay_alu instid0(VALU_DEP_2)
	v_add_nc_u32_e32 v16, v43, v16
.LBB7_35:                               ;   in Loop: Header=BB7_9 Depth=1
	s_and_not1_saveexec_b32 s0, s3
; %bb.36:                               ;   in Loop: Header=BB7_9 Depth=1
	v_mul_f32_e64 v0, 0x3f22f983, |v5|
	s_delay_alu instid0(VALU_DEP_1) | instskip(NEXT) | instid1(VALU_DEP_1)
	v_rndne_f32_e32 v16, v0
	v_fma_f32 v0, 0xbfc90fda, v16, |v5|
	s_delay_alu instid0(VALU_DEP_1) | instskip(NEXT) | instid1(VALU_DEP_1)
	v_fmac_f32_e32 v0, 0xb3a22168, v16
	v_fmac_f32_e32 v0, 0xa7c234c4, v16
	v_cvt_i32_f32_e32 v16, v16
; %bb.37:                               ;   in Loop: Header=BB7_9 Depth=1
	s_or_b32 exec_lo, exec_lo, s0
	s_delay_alu instid0(VALU_DEP_2) | instskip(NEXT) | instid1(VALU_DEP_2)
	v_mul_f32_e32 v40, v0, v0
	v_and_b32_e32 v16, 1, v16
	s_delay_alu instid0(VALU_DEP_2) | instskip(SKIP_1) | instid1(VALU_DEP_3)
	v_fmaak_f32 v41, s39, v40, 0xbf039337
	v_fmaak_f32 v42, s38, v40, 0x3ec54587
	v_cmp_eq_u32_e32 vcc_lo, 0, v16
	s_delay_alu instid0(VALU_DEP_3) | instskip(NEXT) | instid1(VALU_DEP_1)
	v_fmaak_f32 v41, v40, v41, 0x3f93f425
	v_rcp_f32_e32 v41, v41
	s_waitcnt_depctr 0xfff
	v_mul_f32_e32 v41, v42, v41
	s_delay_alu instid0(VALU_DEP_1) | instskip(NEXT) | instid1(VALU_DEP_1)
	v_mul_f32_e32 v40, v40, v41
	v_fma_f32 v41, v40, v0, v0
	s_delay_alu instid0(VALU_DEP_1) | instskip(SKIP_1) | instid1(VALU_DEP_1)
	v_sub_f32_e32 v43, v41, v0
	v_rcp_f32_e32 v42, v41
	v_fma_f32 v0, v40, v0, -v43
	s_waitcnt_depctr 0xfff
	v_fma_f32 v40, v41, -v42, 1.0
	s_delay_alu instid0(VALU_DEP_1) | instskip(NEXT) | instid1(VALU_DEP_1)
	v_fma_f32 v0, v0, -v42, v40
	v_fma_f32 v0, v0, -v42, -v42
	s_delay_alu instid0(VALU_DEP_1) | instskip(SKIP_1) | instid1(VALU_DEP_2)
	v_cndmask_b32_e32 v0, v0, v41, vcc_lo
	v_cmp_class_f32_e64 vcc_lo, v5, 0x1f8
	v_xor3_b32 v0, v15, v5, v0
	s_delay_alu instid0(VALU_DEP_1) | instskip(NEXT) | instid1(VALU_DEP_1)
	v_cndmask_b32_e32 v0, 0x7fc00000, v0, vcc_lo
	v_fma_f32 v0, s15, v0, s14
	global_store_b32 v9, v0, s[12:13]
.LBB7_38:                               ;   in Loop: Header=BB7_9 Depth=1
	s_or_b32 exec_lo, exec_lo, s40
	v_add_co_u32 v15, vcc_lo, v12, s26
	v_add_co_ci_u32_e32 v16, vcc_lo, 0, v13, vcc_lo
	s_mov_b32 s40, exec_lo
	s_delay_alu instid0(VALU_DEP_1)
	v_cmpx_gt_i64_e64 s[16:17], v[15:16]
	s_cbranch_execz .LBB7_57
; %bb.39:                               ;   in Loop: Header=BB7_9 Depth=1
	s_and_not1_b32 vcc_lo, exec_lo, s11
	s_cbranch_vccnz .LBB7_45
; %bb.40:                               ;   in Loop: Header=BB7_9 Depth=1
	v_mov_b32_e32 v5, 0
	s_and_not1_b32 vcc_lo, exec_lo, s30
	s_cbranch_vccnz .LBB7_49
; %bb.41:                               ;   in Loop: Header=BB7_9 Depth=1
	s_and_not1_b32 vcc_lo, exec_lo, s34
	s_mov_b32 s0, 0
	s_cbranch_vccnz .LBB7_46
; %bb.42:                               ;   in Loop: Header=BB7_9 Depth=1
	v_dual_mov_b32 v5, 0 :: v_dual_mov_b32 v0, v15
	s_mov_b32 s41, 0
	s_mov_b64 s[0:1], s[20:21]
	s_mov_b64 s[2:3], s[24:25]
.LBB7_43:                               ;   Parent Loop BB7_9 Depth=1
                                        ; =>  This Inner Loop Header: Depth=2
	s_clause 0x1
	s_load_b256 s[44:51], s[0:1], 0x4
	s_load_b128 s[52:55], s[0:1], 0x24
	s_load_b128 s[56:59], s[2:3], 0x0
	s_add_u32 s0, s0, 48
	s_addc_u32 s1, s1, 0
	s_add_i32 s41, s41, 4
	s_add_u32 s2, s2, 16
	s_addc_u32 s3, s3, 0
	s_cmp_eq_u32 s35, s41
	s_waitcnt lgkmcnt(0)
	v_mul_hi_u32 v9, s45, v0
	s_delay_alu instid0(VALU_DEP_1) | instskip(NEXT) | instid1(VALU_DEP_1)
	v_add_nc_u32_e32 v9, v0, v9
	v_lshrrev_b32_e32 v9, s46, v9
	s_delay_alu instid0(VALU_DEP_1) | instskip(SKIP_1) | instid1(VALU_DEP_2)
	v_mul_hi_u32 v16, s48, v9
	v_mul_lo_u32 v42, v9, s44
	v_add_nc_u32_e32 v16, v9, v16
	s_delay_alu instid0(VALU_DEP_2) | instskip(NEXT) | instid1(VALU_DEP_2)
	v_sub_nc_u32_e32 v42, v0, v42
	v_lshrrev_b32_e32 v16, s49, v16
	s_delay_alu instid0(VALU_DEP_2) | instskip(NEXT) | instid1(VALU_DEP_2)
	v_mul_lo_u32 v42, v42, s56
	v_mul_hi_u32 v40, s51, v16
	v_mul_lo_u32 v43, v16, s47
	s_delay_alu instid0(VALU_DEP_2) | instskip(NEXT) | instid1(VALU_DEP_2)
	v_add_nc_u32_e32 v40, v16, v40
	v_sub_nc_u32_e32 v9, v9, v43
	s_delay_alu instid0(VALU_DEP_2) | instskip(NEXT) | instid1(VALU_DEP_2)
	v_lshrrev_b32_e32 v40, s52, v40
	v_mul_lo_u32 v9, v9, s57
	s_delay_alu instid0(VALU_DEP_2) | instskip(NEXT) | instid1(VALU_DEP_2)
	v_mul_hi_u32 v41, s54, v40
	v_add3_u32 v5, v42, v5, v9
	s_delay_alu instid0(VALU_DEP_2) | instskip(NEXT) | instid1(VALU_DEP_1)
	v_add_nc_u32_e32 v41, v40, v41
	v_lshrrev_b32_e32 v0, s55, v41
	v_mul_lo_u32 v41, v40, s50
	s_delay_alu instid0(VALU_DEP_2) | instskip(NEXT) | instid1(VALU_DEP_2)
	v_mul_lo_u32 v44, v0, s53
	v_sub_nc_u32_e32 v16, v16, v41
	s_delay_alu instid0(VALU_DEP_2) | instskip(NEXT) | instid1(VALU_DEP_2)
	v_sub_nc_u32_e32 v40, v40, v44
	v_mul_lo_u32 v16, v16, s58
	s_delay_alu instid0(VALU_DEP_2) | instskip(NEXT) | instid1(VALU_DEP_1)
	v_mul_lo_u32 v40, v40, s59
	v_add3_u32 v5, v16, v5, v40
	s_cbranch_scc0 .LBB7_43
; %bb.44:                               ;   in Loop: Header=BB7_9 Depth=1
	s_mov_b32 s0, s35
	s_and_not1_b32 vcc_lo, exec_lo, s36
	s_cbranch_vccz .LBB7_47
	s_branch .LBB7_49
.LBB7_45:                               ;   in Loop: Header=BB7_9 Depth=1
                                        ; implicit-def: $vgpr5
	s_branch .LBB7_50
.LBB7_46:                               ;   in Loop: Header=BB7_9 Depth=1
	v_mov_b32_e32 v0, v15
	s_and_not1_b32 vcc_lo, exec_lo, s36
	s_cbranch_vccnz .LBB7_49
.LBB7_47:                               ;   in Loop: Header=BB7_9 Depth=1
	s_lshl_b32 s1, s0, 2
	s_mul_i32 s2, s0, 12
	s_add_u32 s0, s24, s1
	s_addc_u32 s1, s25, 0
	s_add_u32 s2, s20, s2
	s_addc_u32 s3, s21, 0
	s_mov_b32 s41, s33
	.p2align	6
.LBB7_48:                               ;   Parent Loop BB7_9 Depth=1
                                        ; =>  This Inner Loop Header: Depth=2
	s_clause 0x1
	s_load_b64 s[42:43], s[2:3], 0x4
	s_load_b32 s44, s[2:3], 0xc
	s_add_u32 s2, s2, 12
	s_addc_u32 s3, s3, 0
	s_waitcnt lgkmcnt(0)
	v_mul_hi_u32 v9, s43, v0
	s_load_b32 s43, s[0:1], 0x0
	s_add_u32 s0, s0, 4
	s_addc_u32 s1, s1, 0
	s_add_i32 s41, s41, -1
	s_delay_alu instid0(SALU_CYCLE_1) | instskip(NEXT) | instid1(VALU_DEP_1)
	s_cmp_lg_u32 s41, 0
	v_add_nc_u32_e32 v9, v0, v9
	s_delay_alu instid0(VALU_DEP_1) | instskip(NEXT) | instid1(VALU_DEP_1)
	v_lshrrev_b32_e32 v9, s44, v9
	v_mul_lo_u32 v16, v9, s42
	s_delay_alu instid0(VALU_DEP_1) | instskip(SKIP_1) | instid1(VALU_DEP_1)
	v_sub_nc_u32_e32 v0, v0, v16
	s_waitcnt lgkmcnt(0)
	v_mad_u64_u32 v[40:41], null, v0, s43, v[5:6]
	s_delay_alu instid0(VALU_DEP_1)
	v_dual_mov_b32 v0, v9 :: v_dual_mov_b32 v5, v40
	s_cbranch_scc1 .LBB7_48
.LBB7_49:                               ;   in Loop: Header=BB7_9 Depth=1
	s_cbranch_execnz .LBB7_52
.LBB7_50:                               ;   in Loop: Header=BB7_9 Depth=1
	v_mul_hi_u32 v0, v15, s6
	s_and_not1_b32 vcc_lo, exec_lo, s4
	s_delay_alu instid0(VALU_DEP_1) | instskip(NEXT) | instid1(VALU_DEP_1)
	v_add_nc_u32_e32 v0, v0, v15
	v_lshrrev_b32_e32 v0, s7, v0
	s_delay_alu instid0(VALU_DEP_1) | instskip(NEXT) | instid1(VALU_DEP_1)
	v_mul_lo_u32 v5, v0, s5
	v_sub_nc_u32_e32 v5, v15, v5
	s_delay_alu instid0(VALU_DEP_1)
	v_mul_lo_u32 v5, v5, s22
	s_cbranch_vccnz .LBB7_52
; %bb.51:                               ;   in Loop: Header=BB7_9 Depth=1
	v_mul_hi_u32 v9, s9, v0
	s_delay_alu instid0(VALU_DEP_1) | instskip(NEXT) | instid1(VALU_DEP_1)
	v_add_nc_u32_e32 v9, v0, v9
	v_lshrrev_b32_e32 v9, s10, v9
	s_delay_alu instid0(VALU_DEP_1) | instskip(NEXT) | instid1(VALU_DEP_1)
	v_mul_lo_u32 v9, v9, s8
	v_sub_nc_u32_e32 v0, v0, v9
	s_delay_alu instid0(VALU_DEP_1) | instskip(NEXT) | instid1(VALU_DEP_1)
	v_mad_u64_u32 v[15:16], null, v0, s23, v[5:6]
	v_mov_b32_e32 v5, v15
.LBB7_52:                               ;   in Loop: Header=BB7_9 Depth=1
	v_cvt_f32_u32_e32 v0, v6
                                        ; implicit-def: $vgpr15
	s_mov_b32 s1, exec_lo
	s_delay_alu instid0(VALU_DEP_1) | instskip(NEXT) | instid1(VALU_DEP_1)
	v_fmaak_f32 v0, 0x2f800000, v0, 0x2f800000
	v_cmp_nlt_f32_e32 vcc_lo, 0x3f7ffffe, v0
	v_cndmask_b32_e32 v0, 0x3f7ffffe, v0, vcc_lo
	s_delay_alu instid0(VALU_DEP_1) | instskip(SKIP_1) | instid1(VALU_DEP_1)
	v_cmp_ngt_f32_e32 vcc_lo, 0x34000000, v0
	v_cndmask_b32_e32 v0, 0x34000000, v0, vcc_lo
	v_add_f32_e32 v0, -0.5, v0
	s_delay_alu instid0(VALU_DEP_1) | instskip(NEXT) | instid1(VALU_DEP_1)
	v_mul_f32_e32 v6, 0x40490fdb, v0
                                        ; implicit-def: $vgpr0
	v_and_b32_e32 v9, 0x7fffffff, v6
	v_cmpx_ngt_f32_e64 0x48000000, |v6|
	s_xor_b32 s3, exec_lo, s1
	s_cbranch_execz .LBB7_54
; %bb.53:                               ;   in Loop: Header=BB7_9 Depth=1
	s_delay_alu instid0(VALU_DEP_2) | instskip(NEXT) | instid1(VALU_DEP_1)
	v_and_or_b32 v47, v9, s37, 0x800000
	v_mad_u64_u32 v[15:16], null, 0xfe5163ab, v47, 0
	s_delay_alu instid0(VALU_DEP_1) | instskip(SKIP_1) | instid1(VALU_DEP_2)
	v_mov_b32_e32 v0, v16
	v_lshrrev_b32_e32 v16, 23, v9
	v_mad_u64_u32 v[40:41], null, 0x3c439041, v47, v[0:1]
	s_delay_alu instid0(VALU_DEP_2) | instskip(NEXT) | instid1(VALU_DEP_1)
	v_add_nc_u32_e32 v16, 0xffffff88, v16
	v_cmp_lt_u32_e32 vcc_lo, 63, v16
	s_delay_alu instid0(VALU_DEP_3) | instskip(SKIP_1) | instid1(VALU_DEP_2)
	v_mov_b32_e32 v0, v41
	v_cndmask_b32_e64 v45, 0, 0xffffffc0, vcc_lo
	v_mad_u64_u32 v[41:42], null, 0xdb629599, v47, v[0:1]
	s_delay_alu instid0(VALU_DEP_2) | instskip(NEXT) | instid1(VALU_DEP_2)
	v_add_nc_u32_e32 v16, v45, v16
	v_mov_b32_e32 v0, v42
	s_delay_alu instid0(VALU_DEP_2) | instskip(NEXT) | instid1(VALU_DEP_4)
	v_cmp_lt_u32_e64 s0, 31, v16
	v_cndmask_b32_e32 v15, v41, v15, vcc_lo
	s_delay_alu instid0(VALU_DEP_3) | instskip(NEXT) | instid1(VALU_DEP_3)
	v_mad_u64_u32 v[42:43], null, 0xf534ddc0, v47, v[0:1]
	v_cndmask_b32_e64 v46, 0, 0xffffffe0, s0
	s_delay_alu instid0(VALU_DEP_1) | instskip(NEXT) | instid1(VALU_DEP_3)
	v_add_nc_u32_e32 v16, v46, v16
	v_mov_b32_e32 v0, v43
	s_delay_alu instid0(VALU_DEP_2) | instskip(NEXT) | instid1(VALU_DEP_2)
	v_cmp_lt_u32_e64 s1, 31, v16
	v_mad_u64_u32 v[43:44], null, 0xfc2757d1, v47, v[0:1]
	s_delay_alu instid0(VALU_DEP_1) | instskip(NEXT) | instid1(VALU_DEP_1)
	v_mov_b32_e32 v0, v44
	v_mad_u64_u32 v[44:45], null, 0x4e441529, v47, v[0:1]
	s_delay_alu instid0(VALU_DEP_1) | instskip(NEXT) | instid1(VALU_DEP_1)
	v_mov_b32_e32 v0, v45
	v_mad_u64_u32 v[45:46], null, 0xa2f9836e, v47, v[0:1]
	v_cndmask_b32_e64 v0, 0, 0xffffffe0, s1
	s_delay_alu instid0(VALU_DEP_4) | instskip(NEXT) | instid1(VALU_DEP_2)
	v_cndmask_b32_e32 v47, v44, v42, vcc_lo
	v_dual_cndmask_b32 v45, v45, v43 :: v_dual_add_nc_u32 v0, v0, v16
	s_delay_alu instid0(VALU_DEP_4) | instskip(SKIP_1) | instid1(VALU_DEP_3)
	v_dual_cndmask_b32 v44, v46, v44 :: v_dual_cndmask_b32 v43, v43, v41
	v_cndmask_b32_e32 v16, v42, v40, vcc_lo
	v_cmp_eq_u32_e64 s2, 0, v0
	s_delay_alu instid0(VALU_DEP_4) | instskip(NEXT) | instid1(VALU_DEP_4)
	v_cndmask_b32_e64 v40, v45, v47, s0
	v_cndmask_b32_e64 v42, v44, v45, s0
	v_cndmask_b32_e64 v44, v47, v43, s0
	v_sub_nc_u32_e32 v45, 32, v0
	v_cndmask_b32_e64 v43, v43, v16, s0
	v_cndmask_b32_e64 v15, v16, v15, s0
	;; [unrolled: 1-line block ×4, first 2 shown]
	s_delay_alu instid0(VALU_DEP_4) | instskip(NEXT) | instid1(VALU_DEP_4)
	v_cndmask_b32_e64 v44, v44, v43, s1
	v_cndmask_b32_e64 v15, v43, v15, s1
	s_delay_alu instid0(VALU_DEP_3) | instskip(NEXT) | instid1(VALU_DEP_3)
	v_alignbit_b32 v46, v42, v40, v45
	v_alignbit_b32 v47, v40, v44, v45
	s_delay_alu instid0(VALU_DEP_3) | instskip(NEXT) | instid1(VALU_DEP_3)
	v_alignbit_b32 v45, v44, v15, v45
	v_cndmask_b32_e64 v0, v46, v42, s2
	s_delay_alu instid0(VALU_DEP_3) | instskip(NEXT) | instid1(VALU_DEP_3)
	v_cndmask_b32_e64 v40, v47, v40, s2
	v_cndmask_b32_e64 v44, v45, v44, s2
	s_delay_alu instid0(VALU_DEP_3) | instskip(NEXT) | instid1(VALU_DEP_3)
	v_bfe_u32 v41, v0, 29, 1
	v_alignbit_b32 v16, v0, v40, 30
	s_delay_alu instid0(VALU_DEP_3) | instskip(SKIP_1) | instid1(VALU_DEP_4)
	v_alignbit_b32 v40, v40, v44, 30
	v_alignbit_b32 v15, v44, v15, 30
	v_sub_nc_u32_e32 v42, 0, v41
	s_delay_alu instid0(VALU_DEP_1) | instskip(SKIP_3) | instid1(VALU_DEP_4)
	v_xor_b32_e32 v43, v16, v42
	v_cmp_ne_u32_e32 vcc_lo, v16, v42
	v_xor_b32_e32 v40, v40, v42
	v_xor_b32_e32 v15, v15, v42
	v_clz_i32_u32_e32 v46, v43
	s_delay_alu instid0(VALU_DEP_1) | instskip(NEXT) | instid1(VALU_DEP_1)
	v_add_nc_u32_e32 v45, 1, v46
	v_cndmask_b32_e32 v16, 33, v45, vcc_lo
	s_delay_alu instid0(VALU_DEP_1) | instskip(NEXT) | instid1(VALU_DEP_1)
	v_sub_nc_u32_e32 v44, 32, v16
	v_alignbit_b32 v42, v43, v40, v44
	v_alignbit_b32 v15, v40, v15, v44
	v_lshrrev_b32_e32 v40, 29, v0
	s_delay_alu instid0(VALU_DEP_2) | instskip(NEXT) | instid1(VALU_DEP_2)
	v_alignbit_b32 v43, v42, v15, 9
	v_lshlrev_b32_e32 v40, 31, v40
	v_alignbit_b32 v42, v16, v42, 9
	s_delay_alu instid0(VALU_DEP_3) | instskip(NEXT) | instid1(VALU_DEP_2)
	v_clz_i32_u32_e32 v44, v43
	v_or_b32_e32 v42, v42, v40
	v_or_b32_e32 v40, 0x33800000, v40
	s_delay_alu instid0(VALU_DEP_3) | instskip(NEXT) | instid1(VALU_DEP_3)
	v_min_u32_e32 v44, 32, v44
	v_xor_b32_e32 v42, 1.0, v42
	s_delay_alu instid0(VALU_DEP_2) | instskip(SKIP_1) | instid1(VALU_DEP_3)
	v_sub_nc_u32_e32 v45, 31, v44
	v_add_lshl_u32 v16, v44, v16, 23
	v_mul_f32_e32 v44, 0x3fc90fda, v42
	s_delay_alu instid0(VALU_DEP_3) | instskip(NEXT) | instid1(VALU_DEP_3)
	v_alignbit_b32 v15, v43, v15, v45
	v_sub_nc_u32_e32 v16, v40, v16
	s_delay_alu instid0(VALU_DEP_3) | instskip(NEXT) | instid1(VALU_DEP_3)
	v_fma_f32 v40, 0x3fc90fda, v42, -v44
	v_lshrrev_b32_e32 v15, 9, v15
	s_delay_alu instid0(VALU_DEP_2) | instskip(NEXT) | instid1(VALU_DEP_2)
	v_fmac_f32_e32 v40, 0x33a22168, v42
	v_or_b32_e32 v15, v16, v15
	s_delay_alu instid0(VALU_DEP_1) | instskip(SKIP_1) | instid1(VALU_DEP_1)
	v_fmac_f32_e32 v40, 0x3fc90fda, v15
	v_lshrrev_b32_e32 v15, 30, v0
	v_dual_add_f32 v0, v44, v40 :: v_dual_add_nc_u32 v15, v41, v15
.LBB7_54:                               ;   in Loop: Header=BB7_9 Depth=1
	s_and_not1_saveexec_b32 s0, s3
; %bb.55:                               ;   in Loop: Header=BB7_9 Depth=1
	v_mul_f32_e64 v0, 0x3f22f983, |v6|
	s_delay_alu instid0(VALU_DEP_1) | instskip(NEXT) | instid1(VALU_DEP_1)
	v_rndne_f32_e32 v15, v0
	v_fma_f32 v0, 0xbfc90fda, v15, |v6|
	s_delay_alu instid0(VALU_DEP_1) | instskip(NEXT) | instid1(VALU_DEP_1)
	v_fmac_f32_e32 v0, 0xb3a22168, v15
	v_fmac_f32_e32 v0, 0xa7c234c4, v15
	v_cvt_i32_f32_e32 v15, v15
; %bb.56:                               ;   in Loop: Header=BB7_9 Depth=1
	s_or_b32 exec_lo, exec_lo, s0
	s_delay_alu instid0(VALU_DEP_1) | instskip(NEXT) | instid1(VALU_DEP_1)
	v_dual_mul_f32 v16, v0, v0 :: v_dual_and_b32 v15, 1, v15
	v_fmaak_f32 v40, s39, v16, 0xbf039337
	v_fmaak_f32 v41, s38, v16, 0x3ec54587
	s_delay_alu instid0(VALU_DEP_3) | instskip(NEXT) | instid1(VALU_DEP_3)
	v_cmp_eq_u32_e32 vcc_lo, 0, v15
	v_fmaak_f32 v40, v16, v40, 0x3f93f425
	s_delay_alu instid0(VALU_DEP_1) | instskip(SKIP_2) | instid1(VALU_DEP_1)
	v_rcp_f32_e32 v40, v40
	s_waitcnt_depctr 0xfff
	v_mul_f32_e32 v40, v41, v40
	v_mul_f32_e32 v16, v16, v40
	s_delay_alu instid0(VALU_DEP_1) | instskip(NEXT) | instid1(VALU_DEP_1)
	v_fma_f32 v40, v16, v0, v0
	v_rcp_f32_e32 v41, v40
	v_sub_f32_e32 v42, v40, v0
	s_delay_alu instid0(VALU_DEP_1) | instskip(SKIP_2) | instid1(VALU_DEP_1)
	v_fma_f32 v0, v16, v0, -v42
	s_waitcnt_depctr 0xfff
	v_fma_f32 v16, v40, -v41, 1.0
	v_fma_f32 v0, v0, -v41, v16
	s_delay_alu instid0(VALU_DEP_1) | instskip(NEXT) | instid1(VALU_DEP_1)
	v_fma_f32 v0, v0, -v41, -v41
	v_cndmask_b32_e32 v0, v0, v40, vcc_lo
	v_cmp_class_f32_e64 vcc_lo, v6, 0x1f8
	s_delay_alu instid0(VALU_DEP_2) | instskip(NEXT) | instid1(VALU_DEP_1)
	v_xor3_b32 v0, v9, v6, v0
	v_cndmask_b32_e32 v0, 0x7fc00000, v0, vcc_lo
	s_delay_alu instid0(VALU_DEP_1)
	v_fma_f32 v0, s15, v0, s14
	global_store_b32 v5, v0, s[12:13]
.LBB7_57:                               ;   in Loop: Header=BB7_9 Depth=1
	s_or_b32 exec_lo, exec_lo, s40
	v_add_co_u32 v15, vcc_lo, v12, s31
	v_add_co_ci_u32_e32 v16, vcc_lo, 0, v13, vcc_lo
	s_mov_b32 s40, exec_lo
	s_delay_alu instid0(VALU_DEP_1)
	v_cmpx_gt_i64_e64 s[16:17], v[15:16]
	s_cbranch_execz .LBB7_76
; %bb.58:                               ;   in Loop: Header=BB7_9 Depth=1
	s_and_not1_b32 vcc_lo, exec_lo, s11
	s_cbranch_vccnz .LBB7_64
; %bb.59:                               ;   in Loop: Header=BB7_9 Depth=1
	v_mov_b32_e32 v5, 0
	s_and_not1_b32 vcc_lo, exec_lo, s30
	s_cbranch_vccnz .LBB7_68
; %bb.60:                               ;   in Loop: Header=BB7_9 Depth=1
	s_and_not1_b32 vcc_lo, exec_lo, s34
	s_mov_b32 s0, 0
	s_cbranch_vccnz .LBB7_65
; %bb.61:                               ;   in Loop: Header=BB7_9 Depth=1
	v_dual_mov_b32 v5, 0 :: v_dual_mov_b32 v0, v15
	s_mov_b32 s41, 0
	s_mov_b64 s[0:1], s[20:21]
	s_mov_b64 s[2:3], s[24:25]
.LBB7_62:                               ;   Parent Loop BB7_9 Depth=1
                                        ; =>  This Inner Loop Header: Depth=2
	s_clause 0x1
	s_load_b256 s[44:51], s[0:1], 0x4
	s_load_b128 s[52:55], s[0:1], 0x24
	s_load_b128 s[56:59], s[2:3], 0x0
	s_add_u32 s0, s0, 48
	s_addc_u32 s1, s1, 0
	s_add_i32 s41, s41, 4
	s_add_u32 s2, s2, 16
	s_addc_u32 s3, s3, 0
	s_cmp_eq_u32 s35, s41
	s_waitcnt lgkmcnt(0)
	v_mul_hi_u32 v6, s45, v0
	s_delay_alu instid0(VALU_DEP_1) | instskip(NEXT) | instid1(VALU_DEP_1)
	v_add_nc_u32_e32 v6, v0, v6
	v_lshrrev_b32_e32 v6, s46, v6
	s_delay_alu instid0(VALU_DEP_1) | instskip(SKIP_1) | instid1(VALU_DEP_2)
	v_mul_hi_u32 v9, s48, v6
	v_mul_lo_u32 v41, v6, s44
	v_add_nc_u32_e32 v9, v6, v9
	s_delay_alu instid0(VALU_DEP_2) | instskip(NEXT) | instid1(VALU_DEP_2)
	v_sub_nc_u32_e32 v41, v0, v41
	v_lshrrev_b32_e32 v9, s49, v9
	s_delay_alu instid0(VALU_DEP_2) | instskip(NEXT) | instid1(VALU_DEP_2)
	v_mul_lo_u32 v41, v41, s56
	v_mul_hi_u32 v16, s51, v9
	v_mul_lo_u32 v42, v9, s47
	s_delay_alu instid0(VALU_DEP_2) | instskip(NEXT) | instid1(VALU_DEP_2)
	v_add_nc_u32_e32 v16, v9, v16
	v_sub_nc_u32_e32 v6, v6, v42
	s_delay_alu instid0(VALU_DEP_2) | instskip(NEXT) | instid1(VALU_DEP_2)
	v_lshrrev_b32_e32 v16, s52, v16
	v_mul_lo_u32 v6, v6, s57
	s_delay_alu instid0(VALU_DEP_2) | instskip(NEXT) | instid1(VALU_DEP_2)
	v_mul_hi_u32 v40, s54, v16
	v_add3_u32 v5, v41, v5, v6
	s_delay_alu instid0(VALU_DEP_2) | instskip(NEXT) | instid1(VALU_DEP_1)
	v_add_nc_u32_e32 v40, v16, v40
	v_lshrrev_b32_e32 v0, s55, v40
	v_mul_lo_u32 v40, v16, s50
	s_delay_alu instid0(VALU_DEP_2) | instskip(NEXT) | instid1(VALU_DEP_2)
	v_mul_lo_u32 v43, v0, s53
	v_sub_nc_u32_e32 v9, v9, v40
	s_delay_alu instid0(VALU_DEP_2) | instskip(NEXT) | instid1(VALU_DEP_2)
	v_sub_nc_u32_e32 v16, v16, v43
	v_mul_lo_u32 v9, v9, s58
	s_delay_alu instid0(VALU_DEP_2) | instskip(NEXT) | instid1(VALU_DEP_1)
	v_mul_lo_u32 v16, v16, s59
	v_add3_u32 v5, v9, v5, v16
	s_cbranch_scc0 .LBB7_62
; %bb.63:                               ;   in Loop: Header=BB7_9 Depth=1
	s_mov_b32 s0, s35
	s_and_not1_b32 vcc_lo, exec_lo, s36
	s_cbranch_vccz .LBB7_66
	s_branch .LBB7_68
.LBB7_64:                               ;   in Loop: Header=BB7_9 Depth=1
                                        ; implicit-def: $vgpr5
	s_branch .LBB7_69
.LBB7_65:                               ;   in Loop: Header=BB7_9 Depth=1
	v_mov_b32_e32 v0, v15
	s_and_not1_b32 vcc_lo, exec_lo, s36
	s_cbranch_vccnz .LBB7_68
.LBB7_66:                               ;   in Loop: Header=BB7_9 Depth=1
	s_lshl_b32 s1, s0, 2
	s_mul_i32 s2, s0, 12
	s_add_u32 s0, s24, s1
	s_addc_u32 s1, s25, 0
	s_add_u32 s2, s20, s2
	s_addc_u32 s3, s21, 0
	s_mov_b32 s41, s33
	.p2align	6
.LBB7_67:                               ;   Parent Loop BB7_9 Depth=1
                                        ; =>  This Inner Loop Header: Depth=2
	s_clause 0x1
	s_load_b64 s[42:43], s[2:3], 0x4
	s_load_b32 s44, s[2:3], 0xc
	s_add_u32 s2, s2, 12
	s_addc_u32 s3, s3, 0
	s_waitcnt lgkmcnt(0)
	v_mul_hi_u32 v6, s43, v0
	s_load_b32 s43, s[0:1], 0x0
	s_add_u32 s0, s0, 4
	s_addc_u32 s1, s1, 0
	s_add_i32 s41, s41, -1
	s_delay_alu instid0(SALU_CYCLE_1) | instskip(NEXT) | instid1(VALU_DEP_1)
	s_cmp_lg_u32 s41, 0
	v_add_nc_u32_e32 v6, v0, v6
	s_delay_alu instid0(VALU_DEP_1) | instskip(NEXT) | instid1(VALU_DEP_1)
	v_lshrrev_b32_e32 v6, s44, v6
	v_mul_lo_u32 v9, v6, s42
	s_delay_alu instid0(VALU_DEP_1) | instskip(SKIP_1) | instid1(VALU_DEP_1)
	v_sub_nc_u32_e32 v0, v0, v9
	s_waitcnt lgkmcnt(0)
	v_mad_u64_u32 v[40:41], null, v0, s43, v[5:6]
	s_delay_alu instid0(VALU_DEP_1)
	v_dual_mov_b32 v0, v6 :: v_dual_mov_b32 v5, v40
	s_cbranch_scc1 .LBB7_67
.LBB7_68:                               ;   in Loop: Header=BB7_9 Depth=1
	s_cbranch_execnz .LBB7_71
.LBB7_69:                               ;   in Loop: Header=BB7_9 Depth=1
	v_mul_hi_u32 v0, v15, s6
	s_and_not1_b32 vcc_lo, exec_lo, s4
	s_delay_alu instid0(VALU_DEP_1) | instskip(NEXT) | instid1(VALU_DEP_1)
	v_add_nc_u32_e32 v0, v0, v15
	v_lshrrev_b32_e32 v0, s7, v0
	s_delay_alu instid0(VALU_DEP_1) | instskip(NEXT) | instid1(VALU_DEP_1)
	v_mul_lo_u32 v5, v0, s5
	v_sub_nc_u32_e32 v5, v15, v5
	s_delay_alu instid0(VALU_DEP_1)
	v_mul_lo_u32 v5, v5, s22
	s_cbranch_vccnz .LBB7_71
; %bb.70:                               ;   in Loop: Header=BB7_9 Depth=1
	v_mul_hi_u32 v6, s9, v0
	s_delay_alu instid0(VALU_DEP_1) | instskip(NEXT) | instid1(VALU_DEP_1)
	v_add_nc_u32_e32 v6, v0, v6
	v_lshrrev_b32_e32 v6, s10, v6
	s_delay_alu instid0(VALU_DEP_1) | instskip(NEXT) | instid1(VALU_DEP_1)
	v_mul_lo_u32 v6, v6, s8
	v_sub_nc_u32_e32 v0, v0, v6
	s_delay_alu instid0(VALU_DEP_1) | instskip(NEXT) | instid1(VALU_DEP_1)
	v_mad_u64_u32 v[15:16], null, v0, s23, v[5:6]
	v_mov_b32_e32 v5, v15
.LBB7_71:                               ;   in Loop: Header=BB7_9 Depth=1
	v_cvt_f32_u32_e32 v0, v7
                                        ; implicit-def: $vgpr9
	s_mov_b32 s1, exec_lo
	s_delay_alu instid0(VALU_DEP_1) | instskip(NEXT) | instid1(VALU_DEP_1)
	v_fmaak_f32 v0, 0x2f800000, v0, 0x2f800000
	v_cmp_nlt_f32_e32 vcc_lo, 0x3f7ffffe, v0
	v_cndmask_b32_e32 v0, 0x3f7ffffe, v0, vcc_lo
	s_delay_alu instid0(VALU_DEP_1) | instskip(SKIP_1) | instid1(VALU_DEP_1)
	v_cmp_ngt_f32_e32 vcc_lo, 0x34000000, v0
	v_cndmask_b32_e32 v0, 0x34000000, v0, vcc_lo
	v_add_f32_e32 v0, -0.5, v0
	s_delay_alu instid0(VALU_DEP_1) | instskip(NEXT) | instid1(VALU_DEP_1)
	v_mul_f32_e32 v6, 0x40490fdb, v0
                                        ; implicit-def: $vgpr0
	v_and_b32_e32 v7, 0x7fffffff, v6
	v_cmpx_ngt_f32_e64 0x48000000, |v6|
	s_xor_b32 s3, exec_lo, s1
	s_cbranch_execz .LBB7_73
; %bb.72:                               ;   in Loop: Header=BB7_9 Depth=1
	s_delay_alu instid0(VALU_DEP_2) | instskip(NEXT) | instid1(VALU_DEP_1)
	v_and_or_b32 v9, v7, s37, 0x800000
	v_mad_u64_u32 v[15:16], null, 0xfe5163ab, v9, 0
	s_delay_alu instid0(VALU_DEP_1) | instskip(SKIP_1) | instid1(VALU_DEP_2)
	v_mov_b32_e32 v0, v16
	v_lshrrev_b32_e32 v16, 23, v7
	v_mad_u64_u32 v[40:41], null, 0x3c439041, v9, v[0:1]
	s_delay_alu instid0(VALU_DEP_2) | instskip(NEXT) | instid1(VALU_DEP_1)
	v_add_nc_u32_e32 v16, 0xffffff88, v16
	v_cmp_lt_u32_e32 vcc_lo, 63, v16
	s_delay_alu instid0(VALU_DEP_3) | instskip(SKIP_1) | instid1(VALU_DEP_2)
	v_mov_b32_e32 v0, v41
	v_cndmask_b32_e64 v45, 0, 0xffffffc0, vcc_lo
	v_mad_u64_u32 v[41:42], null, 0xdb629599, v9, v[0:1]
	s_delay_alu instid0(VALU_DEP_2) | instskip(NEXT) | instid1(VALU_DEP_2)
	v_add_nc_u32_e32 v16, v45, v16
	v_mov_b32_e32 v0, v42
	s_delay_alu instid0(VALU_DEP_2) | instskip(NEXT) | instid1(VALU_DEP_4)
	v_cmp_lt_u32_e64 s0, 31, v16
	v_cndmask_b32_e32 v15, v41, v15, vcc_lo
	s_delay_alu instid0(VALU_DEP_3) | instskip(NEXT) | instid1(VALU_DEP_3)
	v_mad_u64_u32 v[42:43], null, 0xf534ddc0, v9, v[0:1]
	v_cndmask_b32_e64 v46, 0, 0xffffffe0, s0
	s_delay_alu instid0(VALU_DEP_1) | instskip(NEXT) | instid1(VALU_DEP_3)
	v_add_nc_u32_e32 v16, v46, v16
	v_mov_b32_e32 v0, v43
	s_delay_alu instid0(VALU_DEP_2) | instskip(NEXT) | instid1(VALU_DEP_2)
	v_cmp_lt_u32_e64 s1, 31, v16
	v_mad_u64_u32 v[43:44], null, 0xfc2757d1, v9, v[0:1]
	s_delay_alu instid0(VALU_DEP_1) | instskip(NEXT) | instid1(VALU_DEP_1)
	v_mov_b32_e32 v0, v44
	v_mad_u64_u32 v[44:45], null, 0x4e441529, v9, v[0:1]
	s_delay_alu instid0(VALU_DEP_1) | instskip(NEXT) | instid1(VALU_DEP_1)
	v_mov_b32_e32 v0, v45
	v_mad_u64_u32 v[45:46], null, 0xa2f9836e, v9, v[0:1]
	v_cndmask_b32_e64 v0, 0, 0xffffffe0, s1
	s_delay_alu instid0(VALU_DEP_4) | instskip(NEXT) | instid1(VALU_DEP_2)
	v_cndmask_b32_e32 v9, v44, v42, vcc_lo
	v_dual_cndmask_b32 v45, v45, v43 :: v_dual_add_nc_u32 v0, v0, v16
	s_delay_alu instid0(VALU_DEP_4) | instskip(SKIP_1) | instid1(VALU_DEP_3)
	v_dual_cndmask_b32 v44, v46, v44 :: v_dual_cndmask_b32 v43, v43, v41
	v_cndmask_b32_e32 v16, v42, v40, vcc_lo
	v_cmp_eq_u32_e64 s2, 0, v0
	s_delay_alu instid0(VALU_DEP_4) | instskip(NEXT) | instid1(VALU_DEP_4)
	v_cndmask_b32_e64 v40, v45, v9, s0
	v_cndmask_b32_e64 v42, v44, v45, s0
	v_cndmask_b32_e64 v9, v9, v43, s0
	v_sub_nc_u32_e32 v44, 32, v0
	v_cndmask_b32_e64 v43, v43, v16, s0
	v_cndmask_b32_e64 v15, v16, v15, s0
	;; [unrolled: 1-line block ×4, first 2 shown]
	s_delay_alu instid0(VALU_DEP_4) | instskip(NEXT) | instid1(VALU_DEP_4)
	v_cndmask_b32_e64 v9, v9, v43, s1
	v_cndmask_b32_e64 v15, v43, v15, s1
	s_delay_alu instid0(VALU_DEP_3) | instskip(NEXT) | instid1(VALU_DEP_3)
	v_alignbit_b32 v45, v42, v40, v44
	v_alignbit_b32 v46, v40, v9, v44
	s_delay_alu instid0(VALU_DEP_3) | instskip(NEXT) | instid1(VALU_DEP_3)
	v_alignbit_b32 v44, v9, v15, v44
	v_cndmask_b32_e64 v0, v45, v42, s2
	s_delay_alu instid0(VALU_DEP_3) | instskip(NEXT) | instid1(VALU_DEP_3)
	v_cndmask_b32_e64 v40, v46, v40, s2
	v_cndmask_b32_e64 v9, v44, v9, s2
	s_delay_alu instid0(VALU_DEP_3) | instskip(NEXT) | instid1(VALU_DEP_3)
	v_bfe_u32 v41, v0, 29, 1
	v_alignbit_b32 v16, v0, v40, 30
	s_delay_alu instid0(VALU_DEP_3) | instskip(SKIP_1) | instid1(VALU_DEP_4)
	v_alignbit_b32 v40, v40, v9, 30
	v_alignbit_b32 v9, v9, v15, 30
	v_sub_nc_u32_e32 v42, 0, v41
	s_delay_alu instid0(VALU_DEP_1) | instskip(SKIP_3) | instid1(VALU_DEP_4)
	v_xor_b32_e32 v43, v16, v42
	v_cmp_ne_u32_e32 vcc_lo, v16, v42
	v_xor_b32_e32 v15, v40, v42
	v_xor_b32_e32 v9, v9, v42
	v_clz_i32_u32_e32 v45, v43
	s_delay_alu instid0(VALU_DEP_1) | instskip(NEXT) | instid1(VALU_DEP_1)
	v_add_nc_u32_e32 v44, 1, v45
	v_cndmask_b32_e32 v16, 33, v44, vcc_lo
	s_delay_alu instid0(VALU_DEP_1) | instskip(NEXT) | instid1(VALU_DEP_1)
	v_sub_nc_u32_e32 v40, 32, v16
	v_alignbit_b32 v42, v43, v15, v40
	v_alignbit_b32 v9, v15, v9, v40
	v_lshrrev_b32_e32 v15, 29, v0
	s_delay_alu instid0(VALU_DEP_2) | instskip(NEXT) | instid1(VALU_DEP_2)
	v_alignbit_b32 v40, v42, v9, 9
	v_lshlrev_b32_e32 v15, 31, v15
	v_alignbit_b32 v42, v16, v42, 9
	s_delay_alu instid0(VALU_DEP_3) | instskip(NEXT) | instid1(VALU_DEP_2)
	v_clz_i32_u32_e32 v43, v40
	v_or_b32_e32 v42, v42, v15
	v_or_b32_e32 v15, 0x33800000, v15
	s_delay_alu instid0(VALU_DEP_3) | instskip(NEXT) | instid1(VALU_DEP_3)
	v_min_u32_e32 v43, 32, v43
	v_xor_b32_e32 v42, 1.0, v42
	s_delay_alu instid0(VALU_DEP_2) | instskip(SKIP_1) | instid1(VALU_DEP_3)
	v_sub_nc_u32_e32 v44, 31, v43
	v_add_lshl_u32 v16, v43, v16, 23
	v_mul_f32_e32 v43, 0x3fc90fda, v42
	s_delay_alu instid0(VALU_DEP_3) | instskip(NEXT) | instid1(VALU_DEP_3)
	v_alignbit_b32 v9, v40, v9, v44
	v_sub_nc_u32_e32 v15, v15, v16
	s_delay_alu instid0(VALU_DEP_3) | instskip(NEXT) | instid1(VALU_DEP_3)
	v_fma_f32 v16, 0x3fc90fda, v42, -v43
	v_lshrrev_b32_e32 v9, 9, v9
	s_delay_alu instid0(VALU_DEP_2) | instskip(NEXT) | instid1(VALU_DEP_2)
	v_fmac_f32_e32 v16, 0x33a22168, v42
	v_or_b32_e32 v9, v15, v9
	s_delay_alu instid0(VALU_DEP_1) | instskip(SKIP_1) | instid1(VALU_DEP_1)
	v_fmac_f32_e32 v16, 0x3fc90fda, v9
	v_lshrrev_b32_e32 v9, 30, v0
	v_dual_add_f32 v0, v43, v16 :: v_dual_add_nc_u32 v9, v41, v9
.LBB7_73:                               ;   in Loop: Header=BB7_9 Depth=1
	s_and_not1_saveexec_b32 s0, s3
; %bb.74:                               ;   in Loop: Header=BB7_9 Depth=1
	v_mul_f32_e64 v0, 0x3f22f983, |v6|
	s_delay_alu instid0(VALU_DEP_1) | instskip(NEXT) | instid1(VALU_DEP_1)
	v_rndne_f32_e32 v9, v0
	v_fma_f32 v0, 0xbfc90fda, v9, |v6|
	s_delay_alu instid0(VALU_DEP_1) | instskip(NEXT) | instid1(VALU_DEP_1)
	v_fmac_f32_e32 v0, 0xb3a22168, v9
	v_fmac_f32_e32 v0, 0xa7c234c4, v9
	v_cvt_i32_f32_e32 v9, v9
; %bb.75:                               ;   in Loop: Header=BB7_9 Depth=1
	s_or_b32 exec_lo, exec_lo, s0
	s_delay_alu instid0(VALU_DEP_2) | instskip(NEXT) | instid1(VALU_DEP_1)
	v_mul_f32_e32 v15, v0, v0
	v_dual_fmaak_f32 v16, s39, v15, 0xbf039337 :: v_dual_and_b32 v9, 1, v9
	v_fmaak_f32 v40, s38, v15, 0x3ec54587
	s_delay_alu instid0(VALU_DEP_2) | instskip(NEXT) | instid1(VALU_DEP_3)
	v_cmp_eq_u32_e32 vcc_lo, 0, v9
	v_fmaak_f32 v16, v15, v16, 0x3f93f425
	s_delay_alu instid0(VALU_DEP_1) | instskip(SKIP_2) | instid1(VALU_DEP_1)
	v_rcp_f32_e32 v16, v16
	s_waitcnt_depctr 0xfff
	v_mul_f32_e32 v16, v40, v16
	v_mul_f32_e32 v15, v15, v16
	s_delay_alu instid0(VALU_DEP_1) | instskip(NEXT) | instid1(VALU_DEP_1)
	v_fma_f32 v16, v15, v0, v0
	v_rcp_f32_e32 v40, v16
	v_sub_f32_e32 v41, v16, v0
	s_delay_alu instid0(VALU_DEP_1) | instskip(SKIP_2) | instid1(VALU_DEP_1)
	v_fma_f32 v0, v15, v0, -v41
	s_waitcnt_depctr 0xfff
	v_fma_f32 v15, v16, -v40, 1.0
	v_fma_f32 v0, v0, -v40, v15
	s_delay_alu instid0(VALU_DEP_1) | instskip(NEXT) | instid1(VALU_DEP_1)
	v_fma_f32 v0, v0, -v40, -v40
	v_cndmask_b32_e32 v0, v0, v16, vcc_lo
	v_cmp_class_f32_e64 vcc_lo, v6, 0x1f8
	s_delay_alu instid0(VALU_DEP_2) | instskip(NEXT) | instid1(VALU_DEP_1)
	v_xor3_b32 v0, v7, v6, v0
	v_cndmask_b32_e32 v0, 0x7fc00000, v0, vcc_lo
	s_delay_alu instid0(VALU_DEP_1)
	v_fma_f32 v0, s15, v0, s14
	global_store_b32 v5, v0, s[12:13]
.LBB7_76:                               ;   in Loop: Header=BB7_9 Depth=1
	s_or_b32 exec_lo, exec_lo, s40
	v_add_co_u32 v6, vcc_lo, v12, s29
	v_add_co_ci_u32_e32 v7, vcc_lo, 0, v13, vcc_lo
	s_mov_b32 s40, exec_lo
	s_delay_alu instid0(VALU_DEP_1)
	v_cmpx_gt_i64_e64 s[16:17], v[6:7]
	s_cbranch_execz .LBB7_8
; %bb.77:                               ;   in Loop: Header=BB7_9 Depth=1
	s_and_not1_b32 vcc_lo, exec_lo, s11
	s_cbranch_vccnz .LBB7_83
; %bb.78:                               ;   in Loop: Header=BB7_9 Depth=1
	v_mov_b32_e32 v5, 0
	s_and_not1_b32 vcc_lo, exec_lo, s30
	s_cbranch_vccnz .LBB7_87
; %bb.79:                               ;   in Loop: Header=BB7_9 Depth=1
	s_and_not1_b32 vcc_lo, exec_lo, s34
	s_mov_b32 s0, 0
	s_cbranch_vccnz .LBB7_84
; %bb.80:                               ;   in Loop: Header=BB7_9 Depth=1
	v_dual_mov_b32 v5, 0 :: v_dual_mov_b32 v0, v6
	s_mov_b32 s41, 0
	s_mov_b64 s[0:1], s[20:21]
	s_mov_b64 s[2:3], s[24:25]
.LBB7_81:                               ;   Parent Loop BB7_9 Depth=1
                                        ; =>  This Inner Loop Header: Depth=2
	s_clause 0x1
	s_load_b256 s[44:51], s[0:1], 0x4
	s_load_b128 s[52:55], s[0:1], 0x24
	s_load_b128 s[56:59], s[2:3], 0x0
	s_add_u32 s0, s0, 48
	s_addc_u32 s1, s1, 0
	s_add_i32 s41, s41, 4
	s_add_u32 s2, s2, 16
	s_addc_u32 s3, s3, 0
	s_cmp_eq_u32 s35, s41
	s_waitcnt lgkmcnt(0)
	v_mul_hi_u32 v7, s45, v0
	s_delay_alu instid0(VALU_DEP_1) | instskip(NEXT) | instid1(VALU_DEP_1)
	v_add_nc_u32_e32 v7, v0, v7
	v_lshrrev_b32_e32 v7, s46, v7
	s_delay_alu instid0(VALU_DEP_1) | instskip(SKIP_1) | instid1(VALU_DEP_2)
	v_mul_hi_u32 v9, s48, v7
	v_mul_lo_u32 v40, v7, s44
	v_add_nc_u32_e32 v9, v7, v9
	s_delay_alu instid0(VALU_DEP_2) | instskip(NEXT) | instid1(VALU_DEP_2)
	v_sub_nc_u32_e32 v40, v0, v40
	v_lshrrev_b32_e32 v9, s49, v9
	s_delay_alu instid0(VALU_DEP_2) | instskip(NEXT) | instid1(VALU_DEP_2)
	v_mul_lo_u32 v40, v40, s56
	v_mul_hi_u32 v15, s51, v9
	v_mul_lo_u32 v41, v9, s47
	s_delay_alu instid0(VALU_DEP_2) | instskip(NEXT) | instid1(VALU_DEP_2)
	v_add_nc_u32_e32 v15, v9, v15
	v_sub_nc_u32_e32 v7, v7, v41
	s_delay_alu instid0(VALU_DEP_2) | instskip(NEXT) | instid1(VALU_DEP_2)
	v_lshrrev_b32_e32 v15, s52, v15
	v_mul_lo_u32 v7, v7, s57
	s_delay_alu instid0(VALU_DEP_2) | instskip(NEXT) | instid1(VALU_DEP_2)
	v_mul_hi_u32 v16, s54, v15
	v_add3_u32 v5, v40, v5, v7
	s_delay_alu instid0(VALU_DEP_2) | instskip(NEXT) | instid1(VALU_DEP_1)
	v_add_nc_u32_e32 v16, v15, v16
	v_lshrrev_b32_e32 v0, s55, v16
	v_mul_lo_u32 v16, v15, s50
	s_delay_alu instid0(VALU_DEP_2) | instskip(NEXT) | instid1(VALU_DEP_2)
	v_mul_lo_u32 v42, v0, s53
	v_sub_nc_u32_e32 v9, v9, v16
	s_delay_alu instid0(VALU_DEP_2) | instskip(NEXT) | instid1(VALU_DEP_2)
	v_sub_nc_u32_e32 v15, v15, v42
	v_mul_lo_u32 v9, v9, s58
	s_delay_alu instid0(VALU_DEP_2) | instskip(NEXT) | instid1(VALU_DEP_1)
	v_mul_lo_u32 v15, v15, s59
	v_add3_u32 v5, v9, v5, v15
	s_cbranch_scc0 .LBB7_81
; %bb.82:                               ;   in Loop: Header=BB7_9 Depth=1
	s_mov_b32 s0, s35
	s_and_not1_b32 vcc_lo, exec_lo, s36
	s_cbranch_vccz .LBB7_85
	s_branch .LBB7_87
.LBB7_83:                               ;   in Loop: Header=BB7_9 Depth=1
                                        ; implicit-def: $vgpr5
	s_branch .LBB7_88
.LBB7_84:                               ;   in Loop: Header=BB7_9 Depth=1
	v_mov_b32_e32 v0, v6
	s_and_not1_b32 vcc_lo, exec_lo, s36
	s_cbranch_vccnz .LBB7_87
.LBB7_85:                               ;   in Loop: Header=BB7_9 Depth=1
	s_lshl_b32 s1, s0, 2
	s_mul_i32 s2, s0, 12
	s_add_u32 s0, s24, s1
	s_addc_u32 s1, s25, 0
	s_add_u32 s2, s20, s2
	s_addc_u32 s3, s21, 0
	s_mov_b32 s41, s33
	.p2align	6
.LBB7_86:                               ;   Parent Loop BB7_9 Depth=1
                                        ; =>  This Inner Loop Header: Depth=2
	s_clause 0x1
	s_load_b64 s[42:43], s[2:3], 0x4
	s_load_b32 s44, s[2:3], 0xc
	s_add_u32 s2, s2, 12
	s_addc_u32 s3, s3, 0
	s_waitcnt lgkmcnt(0)
	v_mul_hi_u32 v7, s43, v0
	s_load_b32 s43, s[0:1], 0x0
	s_add_u32 s0, s0, 4
	s_addc_u32 s1, s1, 0
	s_add_i32 s41, s41, -1
	s_delay_alu instid0(SALU_CYCLE_1) | instskip(NEXT) | instid1(VALU_DEP_1)
	s_cmp_lg_u32 s41, 0
	v_add_nc_u32_e32 v7, v0, v7
	s_delay_alu instid0(VALU_DEP_1) | instskip(NEXT) | instid1(VALU_DEP_1)
	v_lshrrev_b32_e32 v7, s44, v7
	v_mul_lo_u32 v9, v7, s42
	s_delay_alu instid0(VALU_DEP_1) | instskip(SKIP_1) | instid1(VALU_DEP_1)
	v_sub_nc_u32_e32 v0, v0, v9
	s_waitcnt lgkmcnt(0)
	v_mad_u64_u32 v[15:16], null, v0, s43, v[5:6]
	v_mov_b32_e32 v0, v7
	s_delay_alu instid0(VALU_DEP_2)
	v_mov_b32_e32 v5, v15
	s_cbranch_scc1 .LBB7_86
.LBB7_87:                               ;   in Loop: Header=BB7_9 Depth=1
	s_cbranch_execnz .LBB7_90
.LBB7_88:                               ;   in Loop: Header=BB7_9 Depth=1
	v_mul_hi_u32 v0, v6, s6
	s_and_not1_b32 vcc_lo, exec_lo, s4
	s_delay_alu instid0(VALU_DEP_1) | instskip(NEXT) | instid1(VALU_DEP_1)
	v_add_nc_u32_e32 v0, v0, v6
	v_lshrrev_b32_e32 v0, s7, v0
	s_delay_alu instid0(VALU_DEP_1) | instskip(NEXT) | instid1(VALU_DEP_1)
	v_mul_lo_u32 v5, v0, s5
	v_sub_nc_u32_e32 v5, v6, v5
	s_delay_alu instid0(VALU_DEP_1)
	v_mul_lo_u32 v5, v5, s22
	s_cbranch_vccnz .LBB7_90
; %bb.89:                               ;   in Loop: Header=BB7_9 Depth=1
	v_mul_hi_u32 v6, s9, v0
	s_delay_alu instid0(VALU_DEP_1) | instskip(NEXT) | instid1(VALU_DEP_1)
	v_add_nc_u32_e32 v6, v0, v6
	v_lshrrev_b32_e32 v6, s10, v6
	s_delay_alu instid0(VALU_DEP_1) | instskip(NEXT) | instid1(VALU_DEP_1)
	v_mul_lo_u32 v6, v6, s8
	v_sub_nc_u32_e32 v0, v0, v6
	s_delay_alu instid0(VALU_DEP_1) | instskip(NEXT) | instid1(VALU_DEP_1)
	v_mad_u64_u32 v[6:7], null, v0, s23, v[5:6]
	v_mov_b32_e32 v5, v6
.LBB7_90:                               ;   in Loop: Header=BB7_9 Depth=1
	v_cvt_f32_u32_e32 v0, v8
                                        ; implicit-def: $vgpr8
	s_mov_b32 s1, exec_lo
	s_delay_alu instid0(VALU_DEP_1) | instskip(NEXT) | instid1(VALU_DEP_1)
	v_fmaak_f32 v0, 0x2f800000, v0, 0x2f800000
	v_cmp_nlt_f32_e32 vcc_lo, 0x3f7ffffe, v0
	v_cndmask_b32_e32 v0, 0x3f7ffffe, v0, vcc_lo
	s_delay_alu instid0(VALU_DEP_1) | instskip(SKIP_1) | instid1(VALU_DEP_1)
	v_cmp_ngt_f32_e32 vcc_lo, 0x34000000, v0
	v_cndmask_b32_e32 v0, 0x34000000, v0, vcc_lo
	v_add_f32_e32 v0, -0.5, v0
	s_delay_alu instid0(VALU_DEP_1) | instskip(NEXT) | instid1(VALU_DEP_1)
	v_mul_f32_e32 v6, 0x40490fdb, v0
                                        ; implicit-def: $vgpr0
	v_and_b32_e32 v7, 0x7fffffff, v6
	v_cmpx_ngt_f32_e64 0x48000000, |v6|
	s_xor_b32 s3, exec_lo, s1
	s_cbranch_execz .LBB7_92
; %bb.91:                               ;   in Loop: Header=BB7_9 Depth=1
	s_delay_alu instid0(VALU_DEP_2) | instskip(NEXT) | instid1(VALU_DEP_1)
	v_and_or_b32 v46, v7, s37, 0x800000
	v_mad_u64_u32 v[8:9], null, 0xfe5163ab, v46, 0
	s_delay_alu instid0(VALU_DEP_1) | instskip(SKIP_1) | instid1(VALU_DEP_1)
	v_mov_b32_e32 v0, v9
	v_lshrrev_b32_e32 v9, 23, v7
	v_add_nc_u32_e32 v9, 0xffffff88, v9
	s_delay_alu instid0(VALU_DEP_3) | instskip(NEXT) | instid1(VALU_DEP_2)
	v_mad_u64_u32 v[15:16], null, 0x3c439041, v46, v[0:1]
	v_cmp_lt_u32_e32 vcc_lo, 63, v9
	s_delay_alu instid0(VALU_DEP_2) | instskip(SKIP_1) | instid1(VALU_DEP_2)
	v_mov_b32_e32 v0, v16
	v_cndmask_b32_e64 v16, 0, 0xffffffc0, vcc_lo
	v_mad_u64_u32 v[40:41], null, 0xdb629599, v46, v[0:1]
	s_delay_alu instid0(VALU_DEP_2) | instskip(NEXT) | instid1(VALU_DEP_1)
	v_add_nc_u32_e32 v9, v16, v9
	v_cmp_lt_u32_e64 s0, 31, v9
	s_delay_alu instid0(VALU_DEP_3) | instskip(NEXT) | instid1(VALU_DEP_4)
	v_mov_b32_e32 v0, v41
	v_cndmask_b32_e32 v8, v40, v8, vcc_lo
	s_delay_alu instid0(VALU_DEP_3) | instskip(NEXT) | instid1(VALU_DEP_3)
	v_cndmask_b32_e64 v16, 0, 0xffffffe0, s0
	v_mad_u64_u32 v[41:42], null, 0xf534ddc0, v46, v[0:1]
	s_delay_alu instid0(VALU_DEP_1) | instskip(NEXT) | instid1(VALU_DEP_1)
	v_dual_mov_b32 v0, v42 :: v_dual_add_nc_u32 v9, v16, v9
	v_cmp_lt_u32_e64 s1, 31, v9
	s_delay_alu instid0(VALU_DEP_2) | instskip(NEXT) | instid1(VALU_DEP_1)
	v_mad_u64_u32 v[42:43], null, 0xfc2757d1, v46, v[0:1]
	v_mov_b32_e32 v0, v43
	s_delay_alu instid0(VALU_DEP_1) | instskip(NEXT) | instid1(VALU_DEP_1)
	v_mad_u64_u32 v[43:44], null, 0x4e441529, v46, v[0:1]
	v_mov_b32_e32 v0, v44
	s_delay_alu instid0(VALU_DEP_2) | instskip(NEXT) | instid1(VALU_DEP_2)
	v_cndmask_b32_e32 v16, v43, v41, vcc_lo
	v_mad_u64_u32 v[44:45], null, 0xa2f9836e, v46, v[0:1]
	v_cndmask_b32_e64 v0, 0, 0xffffffe0, s1
	s_delay_alu instid0(VALU_DEP_1) | instskip(NEXT) | instid1(VALU_DEP_3)
	v_add_nc_u32_e32 v0, v0, v9
	v_dual_cndmask_b32 v44, v44, v42 :: v_dual_cndmask_b32 v43, v45, v43
	v_dual_cndmask_b32 v42, v42, v40 :: v_dual_cndmask_b32 v9, v41, v15
	s_delay_alu instid0(VALU_DEP_3) | instskip(NEXT) | instid1(VALU_DEP_3)
	v_cmp_eq_u32_e64 s2, 0, v0
	v_cndmask_b32_e64 v15, v44, v16, s0
	s_delay_alu instid0(VALU_DEP_4) | instskip(NEXT) | instid1(VALU_DEP_4)
	v_cndmask_b32_e64 v41, v43, v44, s0
	v_cndmask_b32_e64 v16, v16, v42, s0
	v_sub_nc_u32_e32 v43, 32, v0
	v_cndmask_b32_e64 v42, v42, v9, s0
	v_cndmask_b32_e64 v8, v9, v8, s0
	;; [unrolled: 1-line block ×4, first 2 shown]
	s_delay_alu instid0(VALU_DEP_4) | instskip(NEXT) | instid1(VALU_DEP_4)
	v_cndmask_b32_e64 v16, v16, v42, s1
	v_cndmask_b32_e64 v8, v42, v8, s1
	s_delay_alu instid0(VALU_DEP_3) | instskip(NEXT) | instid1(VALU_DEP_3)
	v_alignbit_b32 v44, v41, v15, v43
	v_alignbit_b32 v45, v15, v16, v43
	s_delay_alu instid0(VALU_DEP_3) | instskip(NEXT) | instid1(VALU_DEP_3)
	v_alignbit_b32 v43, v16, v8, v43
	v_cndmask_b32_e64 v0, v44, v41, s2
	s_delay_alu instid0(VALU_DEP_3) | instskip(NEXT) | instid1(VALU_DEP_3)
	v_cndmask_b32_e64 v15, v45, v15, s2
	v_cndmask_b32_e64 v16, v43, v16, s2
	s_delay_alu instid0(VALU_DEP_3) | instskip(NEXT) | instid1(VALU_DEP_3)
	v_bfe_u32 v40, v0, 29, 1
	v_alignbit_b32 v9, v0, v15, 30
	s_delay_alu instid0(VALU_DEP_3) | instskip(SKIP_1) | instid1(VALU_DEP_4)
	v_alignbit_b32 v15, v15, v16, 30
	v_alignbit_b32 v8, v16, v8, 30
	v_sub_nc_u32_e32 v41, 0, v40
	s_delay_alu instid0(VALU_DEP_1) | instskip(SKIP_3) | instid1(VALU_DEP_4)
	v_xor_b32_e32 v42, v9, v41
	v_cmp_ne_u32_e32 vcc_lo, v9, v41
	v_xor_b32_e32 v15, v15, v41
	v_xor_b32_e32 v8, v8, v41
	v_clz_i32_u32_e32 v44, v42
	s_delay_alu instid0(VALU_DEP_1) | instskip(NEXT) | instid1(VALU_DEP_1)
	v_add_nc_u32_e32 v43, 1, v44
	v_cndmask_b32_e32 v9, 33, v43, vcc_lo
	s_delay_alu instid0(VALU_DEP_1) | instskip(NEXT) | instid1(VALU_DEP_1)
	v_sub_nc_u32_e32 v16, 32, v9
	v_alignbit_b32 v41, v42, v15, v16
	v_alignbit_b32 v8, v15, v8, v16
	v_lshrrev_b32_e32 v15, 29, v0
	s_delay_alu instid0(VALU_DEP_2) | instskip(NEXT) | instid1(VALU_DEP_2)
	v_alignbit_b32 v16, v41, v8, 9
	v_lshlrev_b32_e32 v15, 31, v15
	v_alignbit_b32 v41, v9, v41, 9
	s_delay_alu instid0(VALU_DEP_3) | instskip(NEXT) | instid1(VALU_DEP_2)
	v_clz_i32_u32_e32 v42, v16
	v_or_b32_e32 v41, v41, v15
	v_or_b32_e32 v15, 0x33800000, v15
	s_delay_alu instid0(VALU_DEP_3) | instskip(NEXT) | instid1(VALU_DEP_3)
	v_min_u32_e32 v42, 32, v42
	v_xor_b32_e32 v41, 1.0, v41
	s_delay_alu instid0(VALU_DEP_2) | instskip(SKIP_1) | instid1(VALU_DEP_3)
	v_sub_nc_u32_e32 v43, 31, v42
	v_add_lshl_u32 v9, v42, v9, 23
	v_mul_f32_e32 v42, 0x3fc90fda, v41
	s_delay_alu instid0(VALU_DEP_3) | instskip(NEXT) | instid1(VALU_DEP_3)
	v_alignbit_b32 v8, v16, v8, v43
	v_sub_nc_u32_e32 v9, v15, v9
	s_delay_alu instid0(VALU_DEP_3) | instskip(NEXT) | instid1(VALU_DEP_3)
	v_fma_f32 v15, 0x3fc90fda, v41, -v42
	v_lshrrev_b32_e32 v8, 9, v8
	s_delay_alu instid0(VALU_DEP_2) | instskip(NEXT) | instid1(VALU_DEP_2)
	v_fmac_f32_e32 v15, 0x33a22168, v41
	v_or_b32_e32 v8, v9, v8
	s_delay_alu instid0(VALU_DEP_1) | instskip(SKIP_1) | instid1(VALU_DEP_2)
	v_fmac_f32_e32 v15, 0x3fc90fda, v8
	v_lshrrev_b32_e32 v8, 30, v0
	v_add_f32_e32 v0, v42, v15
	s_delay_alu instid0(VALU_DEP_2)
	v_add_nc_u32_e32 v8, v40, v8
.LBB7_92:                               ;   in Loop: Header=BB7_9 Depth=1
	s_and_not1_saveexec_b32 s0, s3
	s_cbranch_execz .LBB7_7
; %bb.93:                               ;   in Loop: Header=BB7_9 Depth=1
	v_mul_f32_e64 v0, 0x3f22f983, |v6|
	s_delay_alu instid0(VALU_DEP_1) | instskip(NEXT) | instid1(VALU_DEP_1)
	v_rndne_f32_e32 v8, v0
	v_fma_f32 v0, 0xbfc90fda, v8, |v6|
	s_delay_alu instid0(VALU_DEP_1) | instskip(NEXT) | instid1(VALU_DEP_1)
	v_fmac_f32_e32 v0, 0xb3a22168, v8
	v_fmac_f32_e32 v0, 0xa7c234c4, v8
	v_cvt_i32_f32_e32 v8, v8
	s_branch .LBB7_7
.LBB7_94:
	s_endpgm
.LBB7_95:
                                        ; implicit-def: $sgpr2_sgpr3
	s_branch .LBB7_4
	.section	.rodata,"a",@progbits
	.p2align	6, 0x0
	.amdhsa_kernel _ZN2at6native12_GLOBAL__N_143distribution_elementwise_grid_stride_kernelIfLi4EZNS0_9templates4cuda21uniform_and_transformIffPNS_17CUDAGeneratorImplEZZZNS4_13cauchy_kernelIS7_EEvRNS_18TensorIteratorBaseEddT_ENKUlvE_clEvENKUlvE0_clEvEUlfE_EEvSA_T1_T2_EUlP25hiprandStatePhilox4_32_10E0_ZNS1_27distribution_nullary_kernelIff15HIP_vector_typeIfLj4EES7_SJ_SE_EEvSA_SG_RKT3_T4_EUlifE0_EEvlNS_15PhiloxCudaStateESF_SG_
		.amdhsa_group_segment_fixed_size 0
		.amdhsa_private_segment_fixed_size 0
		.amdhsa_kernarg_size 584
		.amdhsa_user_sgpr_count 15
		.amdhsa_user_sgpr_dispatch_ptr 0
		.amdhsa_user_sgpr_queue_ptr 0
		.amdhsa_user_sgpr_kernarg_segment_ptr 1
		.amdhsa_user_sgpr_dispatch_id 0
		.amdhsa_user_sgpr_private_segment_size 0
		.amdhsa_wavefront_size32 1
		.amdhsa_uses_dynamic_stack 0
		.amdhsa_enable_private_segment 0
		.amdhsa_system_sgpr_workgroup_id_x 1
		.amdhsa_system_sgpr_workgroup_id_y 0
		.amdhsa_system_sgpr_workgroup_id_z 0
		.amdhsa_system_sgpr_workgroup_info 0
		.amdhsa_system_vgpr_workitem_id 0
		.amdhsa_next_free_vgpr 49
		.amdhsa_next_free_sgpr 60
		.amdhsa_reserve_vcc 1
		.amdhsa_float_round_mode_32 0
		.amdhsa_float_round_mode_16_64 0
		.amdhsa_float_denorm_mode_32 3
		.amdhsa_float_denorm_mode_16_64 3
		.amdhsa_dx10_clamp 1
		.amdhsa_ieee_mode 1
		.amdhsa_fp16_overflow 0
		.amdhsa_workgroup_processor_mode 1
		.amdhsa_memory_ordered 1
		.amdhsa_forward_progress 0
		.amdhsa_shared_vgpr_count 0
		.amdhsa_exception_fp_ieee_invalid_op 0
		.amdhsa_exception_fp_denorm_src 0
		.amdhsa_exception_fp_ieee_div_zero 0
		.amdhsa_exception_fp_ieee_overflow 0
		.amdhsa_exception_fp_ieee_underflow 0
		.amdhsa_exception_fp_ieee_inexact 0
		.amdhsa_exception_int_div_zero 0
	.end_amdhsa_kernel
	.section	.text._ZN2at6native12_GLOBAL__N_143distribution_elementwise_grid_stride_kernelIfLi4EZNS0_9templates4cuda21uniform_and_transformIffPNS_17CUDAGeneratorImplEZZZNS4_13cauchy_kernelIS7_EEvRNS_18TensorIteratorBaseEddT_ENKUlvE_clEvENKUlvE0_clEvEUlfE_EEvSA_T1_T2_EUlP25hiprandStatePhilox4_32_10E0_ZNS1_27distribution_nullary_kernelIff15HIP_vector_typeIfLj4EES7_SJ_SE_EEvSA_SG_RKT3_T4_EUlifE0_EEvlNS_15PhiloxCudaStateESF_SG_,"axG",@progbits,_ZN2at6native12_GLOBAL__N_143distribution_elementwise_grid_stride_kernelIfLi4EZNS0_9templates4cuda21uniform_and_transformIffPNS_17CUDAGeneratorImplEZZZNS4_13cauchy_kernelIS7_EEvRNS_18TensorIteratorBaseEddT_ENKUlvE_clEvENKUlvE0_clEvEUlfE_EEvSA_T1_T2_EUlP25hiprandStatePhilox4_32_10E0_ZNS1_27distribution_nullary_kernelIff15HIP_vector_typeIfLj4EES7_SJ_SE_EEvSA_SG_RKT3_T4_EUlifE0_EEvlNS_15PhiloxCudaStateESF_SG_,comdat
.Lfunc_end7:
	.size	_ZN2at6native12_GLOBAL__N_143distribution_elementwise_grid_stride_kernelIfLi4EZNS0_9templates4cuda21uniform_and_transformIffPNS_17CUDAGeneratorImplEZZZNS4_13cauchy_kernelIS7_EEvRNS_18TensorIteratorBaseEddT_ENKUlvE_clEvENKUlvE0_clEvEUlfE_EEvSA_T1_T2_EUlP25hiprandStatePhilox4_32_10E0_ZNS1_27distribution_nullary_kernelIff15HIP_vector_typeIfLj4EES7_SJ_SE_EEvSA_SG_RKT3_T4_EUlifE0_EEvlNS_15PhiloxCudaStateESF_SG_, .Lfunc_end7-_ZN2at6native12_GLOBAL__N_143distribution_elementwise_grid_stride_kernelIfLi4EZNS0_9templates4cuda21uniform_and_transformIffPNS_17CUDAGeneratorImplEZZZNS4_13cauchy_kernelIS7_EEvRNS_18TensorIteratorBaseEddT_ENKUlvE_clEvENKUlvE0_clEvEUlfE_EEvSA_T1_T2_EUlP25hiprandStatePhilox4_32_10E0_ZNS1_27distribution_nullary_kernelIff15HIP_vector_typeIfLj4EES7_SJ_SE_EEvSA_SG_RKT3_T4_EUlifE0_EEvlNS_15PhiloxCudaStateESF_SG_
                                        ; -- End function
	.section	.AMDGPU.csdata,"",@progbits
; Kernel info:
; codeLenInByte = 9304
; NumSgprs: 62
; NumVgprs: 49
; ScratchSize: 0
; MemoryBound: 0
; FloatMode: 240
; IeeeMode: 1
; LDSByteSize: 0 bytes/workgroup (compile time only)
; SGPRBlocks: 7
; VGPRBlocks: 6
; NumSGPRsForWavesPerEU: 62
; NumVGPRsForWavesPerEU: 49
; Occupancy: 16
; WaveLimiterHint : 1
; COMPUTE_PGM_RSRC2:SCRATCH_EN: 0
; COMPUTE_PGM_RSRC2:USER_SGPR: 15
; COMPUTE_PGM_RSRC2:TRAP_HANDLER: 0
; COMPUTE_PGM_RSRC2:TGID_X_EN: 1
; COMPUTE_PGM_RSRC2:TGID_Y_EN: 0
; COMPUTE_PGM_RSRC2:TGID_Z_EN: 0
; COMPUTE_PGM_RSRC2:TIDIG_COMP_CNT: 0
	.section	.text._ZN2at6native12_GLOBAL__N_143distribution_elementwise_grid_stride_kernelIfLi4EZNS0_9templates4cuda21uniform_and_transformIN3c104HalfEfPNS_17CUDAGeneratorImplEZZZNS4_13cauchy_kernelIS9_EEvRNS_18TensorIteratorBaseEddT_ENKUlvE_clEvENKUlvE1_clEvEUlfE_EEvSC_T1_T2_EUlP25hiprandStatePhilox4_32_10E_ZNS1_27distribution_nullary_kernelIS7_f15HIP_vector_typeIdLj2EES9_SL_SG_EEvSC_SI_RKT3_T4_EUlifE_EEvlNS_15PhiloxCudaStateESH_SI_,"axG",@progbits,_ZN2at6native12_GLOBAL__N_143distribution_elementwise_grid_stride_kernelIfLi4EZNS0_9templates4cuda21uniform_and_transformIN3c104HalfEfPNS_17CUDAGeneratorImplEZZZNS4_13cauchy_kernelIS9_EEvRNS_18TensorIteratorBaseEddT_ENKUlvE_clEvENKUlvE1_clEvEUlfE_EEvSC_T1_T2_EUlP25hiprandStatePhilox4_32_10E_ZNS1_27distribution_nullary_kernelIS7_f15HIP_vector_typeIdLj2EES9_SL_SG_EEvSC_SI_RKT3_T4_EUlifE_EEvlNS_15PhiloxCudaStateESH_SI_,comdat
	.globl	_ZN2at6native12_GLOBAL__N_143distribution_elementwise_grid_stride_kernelIfLi4EZNS0_9templates4cuda21uniform_and_transformIN3c104HalfEfPNS_17CUDAGeneratorImplEZZZNS4_13cauchy_kernelIS9_EEvRNS_18TensorIteratorBaseEddT_ENKUlvE_clEvENKUlvE1_clEvEUlfE_EEvSC_T1_T2_EUlP25hiprandStatePhilox4_32_10E_ZNS1_27distribution_nullary_kernelIS7_f15HIP_vector_typeIdLj2EES9_SL_SG_EEvSC_SI_RKT3_T4_EUlifE_EEvlNS_15PhiloxCudaStateESH_SI_ ; -- Begin function _ZN2at6native12_GLOBAL__N_143distribution_elementwise_grid_stride_kernelIfLi4EZNS0_9templates4cuda21uniform_and_transformIN3c104HalfEfPNS_17CUDAGeneratorImplEZZZNS4_13cauchy_kernelIS9_EEvRNS_18TensorIteratorBaseEddT_ENKUlvE_clEvENKUlvE1_clEvEUlfE_EEvSC_T1_T2_EUlP25hiprandStatePhilox4_32_10E_ZNS1_27distribution_nullary_kernelIS7_f15HIP_vector_typeIdLj2EES9_SL_SG_EEvSC_SI_RKT3_T4_EUlifE_EEvlNS_15PhiloxCudaStateESH_SI_
	.p2align	8
	.type	_ZN2at6native12_GLOBAL__N_143distribution_elementwise_grid_stride_kernelIfLi4EZNS0_9templates4cuda21uniform_and_transformIN3c104HalfEfPNS_17CUDAGeneratorImplEZZZNS4_13cauchy_kernelIS9_EEvRNS_18TensorIteratorBaseEddT_ENKUlvE_clEvENKUlvE1_clEvEUlfE_EEvSC_T1_T2_EUlP25hiprandStatePhilox4_32_10E_ZNS1_27distribution_nullary_kernelIS7_f15HIP_vector_typeIdLj2EES9_SL_SG_EEvSC_SI_RKT3_T4_EUlifE_EEvlNS_15PhiloxCudaStateESH_SI_,@function
_ZN2at6native12_GLOBAL__N_143distribution_elementwise_grid_stride_kernelIfLi4EZNS0_9templates4cuda21uniform_and_transformIN3c104HalfEfPNS_17CUDAGeneratorImplEZZZNS4_13cauchy_kernelIS9_EEvRNS_18TensorIteratorBaseEddT_ENKUlvE_clEvENKUlvE1_clEvEUlfE_EEvSC_T1_T2_EUlP25hiprandStatePhilox4_32_10E_ZNS1_27distribution_nullary_kernelIS7_f15HIP_vector_typeIdLj2EES9_SL_SG_EEvSC_SI_RKT3_T4_EUlifE_EEvlNS_15PhiloxCudaStateESH_SI_: ; @_ZN2at6native12_GLOBAL__N_143distribution_elementwise_grid_stride_kernelIfLi4EZNS0_9templates4cuda21uniform_and_transformIN3c104HalfEfPNS_17CUDAGeneratorImplEZZZNS4_13cauchy_kernelIS9_EEvRNS_18TensorIteratorBaseEddT_ENKUlvE_clEvENKUlvE1_clEvEUlfE_EEvSC_T1_T2_EUlP25hiprandStatePhilox4_32_10E_ZNS1_27distribution_nullary_kernelIS7_f15HIP_vector_typeIdLj2EES9_SL_SG_EEvSC_SI_RKT3_T4_EUlifE_EEvlNS_15PhiloxCudaStateESH_SI_
; %bb.0:
	s_clause 0x2
	s_load_b64 s[8:9], s[0:1], 0x10
	s_load_b128 s[4:7], s[0:1], 0x0
	s_load_b32 s2, s[0:1], 0x20
	s_waitcnt lgkmcnt(0)
	v_dual_mov_b32 v2, s8 :: v_dual_mov_b32 v3, s9
	v_dual_mov_b32 v11, s7 :: v_dual_mov_b32 v10, s6
	s_bitcmp0_b32 s2, 0
	s_mov_b32 s2, 0
	s_cbranch_scc1 .LBB8_2
; %bb.1:
	v_dual_mov_b32 v1, s8 :: v_dual_mov_b32 v2, s9
	v_dual_mov_b32 v4, s6 :: v_dual_mov_b32 v5, s7
	s_load_b64 s[6:7], s[0:1], 0x18
	flat_load_b64 v[2:3], v[1:2]
	flat_load_b64 v[10:11], v[4:5]
	s_waitcnt vmcnt(1) lgkmcnt(0)
	v_add_co_u32 v2, vcc_lo, v2, s6
	v_add_co_ci_u32_e32 v3, vcc_lo, s7, v3, vcc_lo
.LBB8_2:
	s_clause 0x1
	s_load_b32 s3, s[0:1], 0x54
	s_load_b32 s18, s[0:1], 0x48
	s_waitcnt lgkmcnt(0)
	s_and_b32 s17, s3, 0xffff
	s_add_u32 s6, s4, -1
	s_mul_i32 s14, s18, s17
	s_addc_u32 s3, s5, -1
	s_lshl_b32 s16, s14, 2
	s_cmp_lg_u64 s[2:3], 0
	s_cbranch_scc0 .LBB8_31
; %bb.3:
	v_cvt_f32_ubyte0_e32 v1, 0
	v_cvt_f32_u32_e32 v4, s16
	s_sub_u32 s8, 0, s16
	s_subb_u32 s9, 0, 0
	s_delay_alu instid0(VALU_DEP_1) | instskip(NEXT) | instid1(VALU_DEP_1)
	v_fmamk_f32 v1, v1, 0x4f800000, v4
	v_rcp_f32_e32 v1, v1
	s_waitcnt_depctr 0xfff
	v_mul_f32_e32 v1, 0x5f7ffffc, v1
	s_delay_alu instid0(VALU_DEP_1) | instskip(NEXT) | instid1(VALU_DEP_1)
	v_mul_f32_e32 v4, 0x2f800000, v1
	v_trunc_f32_e32 v4, v4
	s_delay_alu instid0(VALU_DEP_1) | instskip(SKIP_1) | instid1(VALU_DEP_2)
	v_fmamk_f32 v1, v4, 0xcf800000, v1
	v_cvt_u32_f32_e32 v4, v4
	v_cvt_u32_f32_e32 v1, v1
	s_delay_alu instid0(VALU_DEP_2) | instskip(NEXT) | instid1(VALU_DEP_2)
	v_readfirstlane_b32 s2, v4
	v_readfirstlane_b32 s7, v1
	s_delay_alu instid0(VALU_DEP_2) | instskip(NEXT) | instid1(VALU_DEP_1)
	s_mul_i32 s10, s8, s2
	s_mul_hi_u32 s12, s8, s7
	s_mul_i32 s11, s9, s7
	s_add_i32 s10, s12, s10
	s_mul_i32 s13, s8, s7
	s_add_i32 s10, s10, s11
	s_mul_hi_u32 s12, s7, s13
	s_mul_hi_u32 s19, s2, s13
	s_mul_i32 s11, s2, s13
	s_mul_hi_u32 s13, s7, s10
	s_mul_i32 s7, s7, s10
	s_mul_hi_u32 s20, s2, s10
	s_add_u32 s7, s12, s7
	s_addc_u32 s12, 0, s13
	s_add_u32 s7, s7, s11
	s_mul_i32 s10, s2, s10
	s_addc_u32 s7, s12, s19
	s_addc_u32 s11, s20, 0
	s_add_u32 s7, s7, s10
	s_addc_u32 s10, 0, s11
	v_add_co_u32 v1, s7, v1, s7
	s_delay_alu instid0(VALU_DEP_1) | instskip(SKIP_1) | instid1(VALU_DEP_1)
	s_cmp_lg_u32 s7, 0
	s_addc_u32 s2, s2, s10
	v_readfirstlane_b32 s7, v1
	s_mul_i32 s10, s8, s2
	s_delay_alu instid0(VALU_DEP_1)
	s_mul_hi_u32 s11, s8, s7
	s_mul_i32 s9, s9, s7
	s_add_i32 s10, s11, s10
	s_mul_i32 s8, s8, s7
	s_add_i32 s10, s10, s9
	s_mul_hi_u32 s11, s2, s8
	s_mul_i32 s12, s2, s8
	s_mul_hi_u32 s8, s7, s8
	s_mul_hi_u32 s13, s7, s10
	s_mul_i32 s7, s7, s10
	s_mul_hi_u32 s9, s2, s10
	s_add_u32 s7, s8, s7
	s_addc_u32 s8, 0, s13
	s_add_u32 s7, s7, s12
	s_mul_i32 s10, s2, s10
	s_addc_u32 s7, s8, s11
	s_addc_u32 s8, s9, 0
	s_add_u32 s7, s7, s10
	s_addc_u32 s8, 0, s8
	v_add_co_u32 v1, s7, v1, s7
	s_delay_alu instid0(VALU_DEP_1) | instskip(SKIP_2) | instid1(VALU_DEP_1)
	s_cmp_lg_u32 s7, 0
	s_addc_u32 s7, s2, s8
	s_ashr_i32 s8, s3, 31
	v_readfirstlane_b32 s10, v1
	s_add_u32 s2, s6, s8
	s_mov_b32 s9, s8
	s_addc_u32 s3, s3, s8
	s_delay_alu instid0(SALU_CYCLE_1) | instskip(NEXT) | instid1(SALU_CYCLE_1)
	s_xor_b64 s[2:3], s[2:3], s[8:9]
	s_mul_i32 s12, s2, s7
	s_mul_hi_u32 s13, s2, s10
	s_mul_hi_u32 s11, s2, s7
	;; [unrolled: 1-line block ×3, first 2 shown]
	s_mul_i32 s10, s3, s10
	s_add_u32 s12, s13, s12
	s_addc_u32 s11, 0, s11
	s_mul_hi_u32 s19, s3, s7
	s_add_u32 s10, s12, s10
	s_mul_i32 s7, s3, s7
	s_addc_u32 s10, s11, s20
	s_addc_u32 s11, s19, 0
	s_add_u32 s7, s10, s7
	s_addc_u32 s10, 0, s11
	s_mul_i32 s12, s16, s7
	s_add_u32 s11, s7, 1
	v_sub_co_u32 v1, s2, s2, s12
	s_mul_hi_u32 s12, s16, s7
	s_addc_u32 s13, s10, 0
	s_mul_i32 s19, s16, s10
	s_delay_alu instid0(VALU_DEP_1)
	v_sub_co_u32 v4, s20, v1, s16
	s_add_u32 s21, s7, 2
	s_addc_u32 s22, s10, 0
	s_add_i32 s12, s12, s19
	s_cmp_lg_u32 s2, 0
	v_readfirstlane_b32 s2, v4
	s_subb_u32 s3, s3, s12
	s_cmp_lg_u32 s20, 0
	s_subb_u32 s12, s3, 0
	s_delay_alu instid0(VALU_DEP_1) | instskip(SKIP_4) | instid1(SALU_CYCLE_1)
	s_cmp_ge_u32 s2, s16
	s_cselect_b32 s2, -1, 0
	s_cmp_eq_u32 s12, 0
	v_readfirstlane_b32 s12, v1
	s_cselect_b32 s2, s2, -1
	s_cmp_lg_u32 s2, 0
	s_cselect_b32 s2, s21, s11
	s_cselect_b32 s11, s22, s13
	s_cmp_ge_u32 s12, s16
	s_cselect_b32 s12, -1, 0
	s_cmp_eq_u32 s3, 0
	s_cselect_b32 s3, s12, -1
	s_delay_alu instid0(SALU_CYCLE_1) | instskip(SKIP_2) | instid1(SALU_CYCLE_1)
	s_cmp_lg_u32 s3, 0
	s_cselect_b32 s3, s11, s10
	s_cselect_b32 s2, s2, s7
	s_xor_b64 s[2:3], s[2:3], s[8:9]
	s_delay_alu instid0(SALU_CYCLE_1)
	s_sub_u32 s2, s2, s8
	s_subb_u32 s3, s3, s8
	s_cbranch_execnz .LBB8_5
.LBB8_4:
	v_cvt_f32_u32_e32 v1, s16
	s_sub_i32 s3, 0, s16
	s_delay_alu instid0(VALU_DEP_1) | instskip(SKIP_2) | instid1(VALU_DEP_1)
	v_rcp_iflag_f32_e32 v1, v1
	s_waitcnt_depctr 0xfff
	v_mul_f32_e32 v1, 0x4f7ffffe, v1
	v_cvt_u32_f32_e32 v1, v1
	s_delay_alu instid0(VALU_DEP_1) | instskip(NEXT) | instid1(VALU_DEP_1)
	v_readfirstlane_b32 s2, v1
	s_mul_i32 s3, s3, s2
	s_delay_alu instid0(SALU_CYCLE_1) | instskip(NEXT) | instid1(SALU_CYCLE_1)
	s_mul_hi_u32 s3, s2, s3
	s_add_i32 s2, s2, s3
	s_delay_alu instid0(SALU_CYCLE_1) | instskip(NEXT) | instid1(SALU_CYCLE_1)
	s_mul_hi_u32 s2, s6, s2
	s_mul_i32 s3, s2, s16
	s_delay_alu instid0(SALU_CYCLE_1)
	s_sub_i32 s3, s6, s3
	s_add_i32 s6, s2, 1
	s_sub_i32 s7, s3, s16
	s_cmp_ge_u32 s3, s16
	s_cselect_b32 s2, s6, s2
	s_cselect_b32 s3, s7, s3
	s_add_i32 s6, s2, 1
	s_cmp_ge_u32 s3, s16
	s_mov_b32 s3, 0
	s_cselect_b32 s2, s6, s2
.LBB8_5:
	v_mov_b32_e32 v1, 0
	s_add_u32 s2, s2, 1
	s_addc_u32 s3, s3, 0
	s_mul_hi_u32 s6, s14, s2
	s_mul_i32 s3, s14, s3
	v_mad_u64_u32 v[12:13], null, s17, s15, v[0:1]
	s_mul_hi_u32 s7, s18, s17
	s_add_i32 s3, s6, s3
	s_mul_i32 s7, s7, s2
	s_mul_i32 s2, s14, s2
	s_add_i32 s3, s3, s7
	s_delay_alu instid0(SALU_CYCLE_1)
	s_lshl_b64 s[6:7], s[2:3], 2
	s_mov_b32 s2, exec_lo
	v_cmpx_gt_i64_e64 s[6:7], v[12:13]
	s_cbranch_execz .LBB8_30
; %bb.6:
	v_alignbit_b32 v16, v3, v2, 2
	v_mad_u64_u32 v[6:7], null, 0xcd9e8d57, v12, 0
	v_lshrrev_b32_e32 v17, 2, v3
	s_waitcnt vmcnt(0)
	v_dual_mov_b32 v36, v11 :: v_dual_add_nc_u32 v33, 0x8ff34781, v10
	v_mad_u64_u32 v[4:5], null, 0xd2511f53, v16, 0
	v_add_co_u32 v19, null, 0x9e3779b9, v10
	s_delay_alu instid0(VALU_DEP_3) | instskip(SKIP_1) | instid1(VALU_DEP_4)
	v_add_co_u32 v18, null, 0xbb67ae85, v36
	v_add_co_u32 v20, null, 0x3c6ef372, v10
	v_xor_b32_e32 v3, v5, v11
	v_xor3_b32 v5, v10, v7, v17
	v_add_co_u32 v21, null, 0x76cf5d0a, v36
	v_add_co_u32 v22, null, 0x32370b8f, v36
	s_delay_alu instid0(VALU_DEP_4) | instskip(NEXT) | instid1(VALU_DEP_4)
	v_xor_b32_e32 v3, v3, v13
	v_mad_u64_u32 v[7:8], null, 0xd2511f53, v5, 0
	v_add_co_u32 v23, null, 0xdaa66d2b, v10
	s_delay_alu instid0(VALU_DEP_3) | instskip(SKIP_1) | instid1(VALU_DEP_4)
	v_mad_u64_u32 v[14:15], null, 0xcd9e8d57, v3, 0
	v_add_co_u32 v24, null, 0x78dde6e4, v10
	v_xor3_b32 v5, v18, v8, v4
	v_add_co_u32 v25, null, 0xed9eba14, v36
	v_add_co_u32 v26, null, 0xa9066899, v36
	v_xor3_b32 v8, v19, v15, v6
	s_delay_alu instid0(VALU_DEP_4) | instskip(SKIP_1) | instid1(VALU_DEP_3)
	v_mad_u64_u32 v[3:4], null, 0xcd9e8d57, v5, 0
	v_add_co_u32 v27, null, 0x1715609d, v10
	v_mad_u64_u32 v[5:6], null, 0xd2511f53, v8, 0
	v_add_co_u32 v28, null, 0xb54cda56, v10
	s_delay_alu instid0(VALU_DEP_4) | instskip(SKIP_3) | instid1(VALU_DEP_4)
	v_xor3_b32 v4, v20, v4, v14
	v_add_co_u32 v29, null, 0x646e171e, v36
	v_add_co_u32 v30, null, 0x1fd5c5a3, v36
	v_xor3_b32 v14, v21, v6, v7
	v_mad_u64_u32 v[6:7], null, 0xd2511f53, v4, 0
	v_add_co_u32 v31, null, 0x5384540f, v10
	s_delay_alu instid0(VALU_DEP_3) | instskip(SKIP_1) | instid1(VALU_DEP_4)
	v_mad_u64_u32 v[8:9], null, 0xcd9e8d57, v14, 0
	v_dual_mov_b32 v37, v12 :: v_dual_and_b32 v32, 3, v2
	v_xor3_b32 v5, v22, v7, v5
	s_clause 0x1
	s_load_b128 s[8:11], s[0:1], 0x38
	s_load_b64 s[12:13], s[0:1], 0x30
	v_add_co_u32 v35, null, 0xf1bbcdc8, v10
	s_delay_alu instid0(VALU_DEP_4) | instskip(SKIP_2) | instid1(VALU_DEP_3)
	v_xor3_b32 v7, v23, v9, v3
	v_mad_u64_u32 v[3:4], null, 0xcd9e8d57, v5, 0
	v_add_co_u32 v36, null, 0xdb3d7428, v36
	v_mad_u64_u32 v[14:15], null, 0xd2511f53, v7, 0
	v_add_nc_u32_e32 v34, 0x96a522ad, v11
	s_mov_b32 s3, 0
	s_delay_alu instid0(VALU_DEP_4) | instskip(SKIP_2) | instid1(VALU_DEP_3)
	v_xor3_b32 v7, v24, v4, v8
	s_waitcnt lgkmcnt(0)
	s_mov_b32 s11, 0x7fffff
	v_xor3_b32 v8, v25, v15, v6
	s_delay_alu instid0(VALU_DEP_2) | instskip(SKIP_1) | instid1(VALU_DEP_2)
	v_mad_u64_u32 v[4:5], null, 0xd2511f53, v7, 0
	s_mul_i32 s0, s18, s8
	v_mad_u64_u32 v[6:7], null, 0xcd9e8d57, v8, 0
	s_mul_i32 s0, s0, s17
	s_delay_alu instid0(VALU_DEP_2) | instskip(NEXT) | instid1(VALU_DEP_2)
	v_xor3_b32 v5, v26, v5, v14
	v_xor3_b32 v3, v27, v7, v3
	s_delay_alu instid0(VALU_DEP_2) | instskip(NEXT) | instid1(VALU_DEP_2)
	v_mad_u64_u32 v[7:8], null, 0xcd9e8d57, v5, 0
	v_mad_u64_u32 v[14:15], null, 0xd2511f53, v3, 0
	s_delay_alu instid0(VALU_DEP_2) | instskip(NEXT) | instid1(VALU_DEP_2)
	v_xor3_b32 v5, v28, v8, v6
	v_xor3_b32 v8, v29, v15, v4
	s_delay_alu instid0(VALU_DEP_2) | instskip(NEXT) | instid1(VALU_DEP_2)
	v_mad_u64_u32 v[3:4], null, 0xd2511f53, v5, 0
	v_mad_u64_u32 v[5:6], null, 0xcd9e8d57, v8, 0
	;; [unrolled: 1-line block ×3, first 2 shown]
	s_delay_alu instid0(VALU_DEP_3) | instskip(SKIP_2) | instid1(VALU_DEP_3)
	v_xor3_b32 v2, v30, v4, v14
	s_add_i32 s15, s15, s18
	s_mov_b32 s18, 0
	v_xor3_b32 v4, v31, v6, v7
	s_delay_alu instid0(VALU_DEP_2) | instskip(NEXT) | instid1(VALU_DEP_4)
	v_mad_u64_u32 v[14:15], null, 0xcd9e8d57, v2, 0
	v_mul_lo_u32 v38, s8, v8
	s_delay_alu instid0(VALU_DEP_3) | instskip(NEXT) | instid1(VALU_DEP_3)
	v_mad_u64_u32 v[40:41], null, 0xd2511f53, v4, 0
	v_xor3_b32 v5, v35, v15, v5
	s_delay_alu instid0(VALU_DEP_2) | instskip(SKIP_1) | instid1(VALU_DEP_3)
	v_xor3_b32 v9, v36, v41, v3
	v_mad_u64_u32 v[2:3], null, s15, s17, v[0:1]
	v_mad_u64_u32 v[3:4], null, 0xd2511f53, v5, 0
	s_delay_alu instid0(VALU_DEP_3) | instskip(SKIP_2) | instid1(VALU_DEP_3)
	v_mad_u64_u32 v[6:7], null, 0xcd9e8d57, v9, 0
	s_mov_b32 s15, 0xbc8cedd3
	s_mov_b32 s17, 0x3c971480
	v_mul_lo_u32 v39, s8, v2
	s_lshl_b32 s8, s0, 2
	s_delay_alu instid0(VALU_DEP_3) | instskip(NEXT) | instid1(VALU_DEP_3)
	v_mov_b32_e32 v8, v3
	v_xor3_b32 v5, v7, v14, v33
	v_xor3_b32 v7, v4, v40, v34
	v_mov_b32_e32 v40, v13
	s_branch .LBB8_9
.LBB8_7:                                ;   in Loop: Header=BB8_9 Depth=1
	s_or_b32 exec_lo, exec_lo, s0
	s_delay_alu instid0(VALU_DEP_1) | instskip(NEXT) | instid1(VALU_DEP_1)
	v_dual_mul_f32 v8, v0, v0 :: v_dual_and_b32 v7, 1, v7
	v_fmaak_f32 v9, s17, v8, 0xbf039337
	v_fmaak_f32 v15, s15, v8, 0x3ec54587
	s_delay_alu instid0(VALU_DEP_3) | instskip(SKIP_1) | instid1(VALU_DEP_4)
	v_cmp_eq_u32_e32 vcc_lo, 0, v7
	v_add_nc_u32_e32 v7, s18, v39
	v_fmaak_f32 v9, v8, v9, 0x3f93f425
	s_delay_alu instid0(VALU_DEP_1) | instskip(SKIP_2) | instid1(VALU_DEP_1)
	v_rcp_f32_e32 v9, v9
	s_waitcnt_depctr 0xfff
	v_mul_f32_e32 v9, v15, v9
	v_mul_f32_e32 v8, v8, v9
	s_delay_alu instid0(VALU_DEP_1) | instskip(NEXT) | instid1(VALU_DEP_1)
	v_fma_f32 v9, v8, v0, v0
	v_rcp_f32_e32 v15, v9
	v_sub_f32_e32 v41, v9, v0
	s_delay_alu instid0(VALU_DEP_1) | instskip(SKIP_2) | instid1(VALU_DEP_1)
	v_fma_f32 v0, v8, v0, -v41
	s_waitcnt_depctr 0xfff
	v_fma_f32 v8, v9, -v15, 1.0
	v_fma_f32 v0, v0, -v15, v8
	s_delay_alu instid0(VALU_DEP_1) | instskip(NEXT) | instid1(VALU_DEP_1)
	v_fma_f32 v0, v0, -v15, -v15
	v_cndmask_b32_e32 v0, v0, v9, vcc_lo
	v_cmp_class_f32_e64 vcc_lo, v5, 0x1f8
	s_delay_alu instid0(VALU_DEP_2) | instskip(SKIP_1) | instid1(VALU_DEP_2)
	v_xor3_b32 v0, v6, v5, v0
	v_ashrrev_i32_e32 v6, 31, v7
	v_cndmask_b32_e32 v0, 0x7fc00000, v0, vcc_lo
	v_add_co_u32 v5, vcc_lo, s12, v7
	s_delay_alu instid0(VALU_DEP_3) | instskip(NEXT) | instid1(VALU_DEP_3)
	v_add_co_ci_u32_e32 v6, vcc_lo, s13, v6, vcc_lo
	v_fma_mixlo_f16 v0, s10, v0, s9
	global_store_b16 v[5:6], v0, off
.LBB8_8:                                ;   in Loop: Header=BB8_9 Depth=1
	s_or_b32 exec_lo, exec_lo, s19
	v_add_co_u32 v12, vcc_lo, v12, s16
	v_add_co_ci_u32_e32 v13, vcc_lo, 0, v13, vcc_lo
	v_mov_b32_e32 v5, v14
	s_add_i32 s18, s18, s8
	s_waitcnt_vscnt null, 0x0
	s_delay_alu instid0(VALU_DEP_2)
	v_cmp_le_i64_e32 vcc_lo, s[6:7], v[12:13]
	s_barrier
	v_mov_b32_e32 v8, v5
	v_dual_mov_b32 v7, v4 :: v_dual_mov_b32 v6, v3
	v_mov_b32_e32 v5, v2
	s_or_b32 s3, vcc_lo, s3
	buffer_gl0_inv
	s_and_not1_b32 exec_lo, exec_lo, s3
	s_cbranch_execz .LBB8_30
.LBB8_9:                                ; =>This Inner Loop Header: Depth=1
	v_add_co_u32 v16, vcc_lo, v16, 1
	s_delay_alu instid0(VALU_DEP_1) | instskip(SKIP_1) | instid1(VALU_DEP_3)
	v_cndmask_b32_e64 v0, 0, 1, vcc_lo
	v_add_co_ci_u32_e32 v17, vcc_lo, 0, v17, vcc_lo
	v_mad_u64_u32 v[2:3], null, 0xd2511f53, v16, 0
	s_mov_b32 s0, exec_lo
	s_delay_alu instid0(VALU_DEP_2) | instskip(SKIP_1) | instid1(VALU_DEP_1)
	v_cmp_eq_u32_e32 vcc_lo, 0, v17
	v_cndmask_b32_e32 v0, 0, v0, vcc_lo
	v_add_nc_u32_e32 v37, v0, v37
	s_delay_alu instid0(VALU_DEP_1) | instskip(SKIP_2) | instid1(VALU_DEP_2)
	v_cmp_eq_u32_e32 vcc_lo, 0, v37
	v_cndmask_b32_e32 v0, 0, v0, vcc_lo
	v_mad_u64_u32 v[14:15], null, 0xcd9e8d57, v37, 0
	v_add_nc_u32_e32 v40, v0, v40
	v_xor_b32_e32 v0, v3, v11
	s_delay_alu instid0(VALU_DEP_3) | instskip(NEXT) | instid1(VALU_DEP_2)
	v_xor3_b32 v9, v15, v10, v17
	v_xor_b32_e32 v0, v40, v0
	s_delay_alu instid0(VALU_DEP_2) | instskip(NEXT) | instid1(VALU_DEP_2)
	v_mad_u64_u32 v[3:4], null, 0xd2511f53, v9, 0
	v_mad_u64_u32 v[41:42], null, 0xcd9e8d57, v0, 0
	s_delay_alu instid0(VALU_DEP_2) | instskip(NEXT) | instid1(VALU_DEP_2)
	v_xor3_b32 v0, v18, v4, v2
	v_xor3_b32 v2, v19, v42, v14
	s_delay_alu instid0(VALU_DEP_2) | instskip(NEXT) | instid1(VALU_DEP_2)
	v_mad_u64_u32 v[14:15], null, 0xcd9e8d57, v0, 0
	v_mad_u64_u32 v[42:43], null, 0xd2511f53, v2, 0
	s_delay_alu instid0(VALU_DEP_2) | instskip(NEXT) | instid1(VALU_DEP_2)
	v_xor3_b32 v0, v20, v15, v41
	v_xor3_b32 v4, v21, v43, v3
	;; [unrolled: 6-line block ×9, first 2 shown]
	s_delay_alu instid0(VALU_DEP_2)
	v_mov_b32_e32 v4, v9
	v_cmpx_lt_i32_e32 1, v32
	s_xor_b32 s0, exec_lo, s0
	s_cbranch_execnz .LBB8_12
; %bb.10:                               ;   in Loop: Header=BB8_9 Depth=1
	s_and_not1_saveexec_b32 s0, s0
	s_cbranch_execnz .LBB8_17
.LBB8_11:                               ;   in Loop: Header=BB8_9 Depth=1
	s_or_b32 exec_lo, exec_lo, s0
	s_delay_alu instid0(SALU_CYCLE_1)
	s_mov_b32 s19, exec_lo
	v_cmpx_gt_i64_e64 s[4:5], v[12:13]
	s_cbranch_execnz .LBB8_20
	s_branch .LBB8_25
.LBB8_12:                               ;   in Loop: Header=BB8_9 Depth=1
	s_mov_b32 s1, exec_lo
	v_cmpx_lt_i32_e32 2, v32
	s_xor_b32 s1, exec_lo, s1
; %bb.13:                               ;   in Loop: Header=BB8_9 Depth=1
	v_dual_mov_b32 v6, v8 :: v_dual_mov_b32 v7, v2
	v_mov_b32_e32 v8, v3
	s_delay_alu instid0(VALU_DEP_2) | instskip(NEXT) | instid1(VALU_DEP_3)
	v_mov_b32_e32 v5, v6
	v_mov_b32_e32 v6, v7
	s_delay_alu instid0(VALU_DEP_3)
	v_mov_b32_e32 v7, v8
	v_mov_b32_e32 v8, v9
; %bb.14:                               ;   in Loop: Header=BB8_9 Depth=1
	s_and_not1_saveexec_b32 s1, s1
; %bb.15:                               ;   in Loop: Header=BB8_9 Depth=1
	s_delay_alu instid0(VALU_DEP_1)
	v_dual_mov_b32 v5, v7 :: v_dual_mov_b32 v6, v8
	v_dual_mov_b32 v7, v2 :: v_dual_mov_b32 v8, v3
; %bb.16:                               ;   in Loop: Header=BB8_9 Depth=1
	s_or_b32 exec_lo, exec_lo, s1
	s_and_not1_saveexec_b32 s0, s0
	s_cbranch_execz .LBB8_11
.LBB8_17:                               ;   in Loop: Header=BB8_9 Depth=1
	s_mov_b32 s1, exec_lo
	v_cmpx_eq_u32_e32 1, v32
; %bb.18:                               ;   in Loop: Header=BB8_9 Depth=1
	v_dual_mov_b32 v5, v6 :: v_dual_mov_b32 v6, v7
	v_dual_mov_b32 v7, v8 :: v_dual_mov_b32 v8, v2
; %bb.19:                               ;   in Loop: Header=BB8_9 Depth=1
	s_or_b32 exec_lo, exec_lo, s1
	s_delay_alu instid0(SALU_CYCLE_1) | instskip(NEXT) | instid1(SALU_CYCLE_1)
	s_or_b32 exec_lo, exec_lo, s0
	s_mov_b32 s19, exec_lo
	v_cmpx_gt_i64_e64 s[4:5], v[12:13]
	s_cbranch_execz .LBB8_25
.LBB8_20:                               ;   in Loop: Header=BB8_9 Depth=1
	v_lshrrev_b32_e32 v0, 11, v6
	v_cvt_f64_u32_e32 v[5:6], v5
                                        ; implicit-def: $vgpr9
	s_mov_b32 s1, exec_lo
	s_delay_alu instid0(VALU_DEP_2) | instskip(NEXT) | instid1(VALU_DEP_1)
	v_cvt_f64_u32_e32 v[41:42], v0
	v_ldexp_f64 v[41:42], v[41:42], 32
	s_delay_alu instid0(VALU_DEP_1) | instskip(NEXT) | instid1(VALU_DEP_1)
	v_add_f64 v[5:6], v[41:42], v[5:6]
	v_fma_f64 v[5:6], 0x3ca00000, v[5:6], 0x3ca00000
	s_delay_alu instid0(VALU_DEP_1) | instskip(NEXT) | instid1(VALU_DEP_1)
	v_cvt_f32_f64_e32 v0, v[5:6]
	v_cmp_nlt_f32_e32 vcc_lo, 0x3f7ffffe, v0
	v_cndmask_b32_e32 v0, 0x3f7ffffe, v0, vcc_lo
	s_delay_alu instid0(VALU_DEP_1) | instskip(SKIP_1) | instid1(VALU_DEP_1)
	v_cmp_ngt_f32_e32 vcc_lo, 0x34000000, v0
	v_cndmask_b32_e32 v0, 0x34000000, v0, vcc_lo
	v_add_f32_e32 v0, -0.5, v0
	s_delay_alu instid0(VALU_DEP_1) | instskip(NEXT) | instid1(VALU_DEP_1)
	v_mul_f32_e32 v5, 0x40490fdb, v0
                                        ; implicit-def: $vgpr0
	v_and_b32_e32 v6, 0x7fffffff, v5
	v_cmpx_ngt_f32_e64 0x48000000, |v5|
	s_xor_b32 s20, exec_lo, s1
	s_cbranch_execz .LBB8_22
; %bb.21:                               ;   in Loop: Header=BB8_9 Depth=1
	s_delay_alu instid0(VALU_DEP_2) | instskip(SKIP_1) | instid1(VALU_DEP_2)
	v_and_or_b32 v9, v6, s11, 0x800000
	v_lshrrev_b32_e32 v15, 23, v6
	v_mad_u64_u32 v[41:42], null, 0xfe5163ab, v9, 0
	s_delay_alu instid0(VALU_DEP_2) | instskip(NEXT) | instid1(VALU_DEP_1)
	v_add_nc_u32_e32 v15, 0xffffff88, v15
	v_cmp_lt_u32_e32 vcc_lo, 63, v15
	s_delay_alu instid0(VALU_DEP_3) | instskip(SKIP_1) | instid1(VALU_DEP_2)
	v_mov_b32_e32 v0, v42
	v_cndmask_b32_e64 v47, 0, 0xffffffc0, vcc_lo
	v_mad_u64_u32 v[42:43], null, 0x3c439041, v9, v[0:1]
	s_delay_alu instid0(VALU_DEP_2) | instskip(NEXT) | instid1(VALU_DEP_1)
	v_add_nc_u32_e32 v15, v47, v15
	v_cmp_lt_u32_e64 s0, 31, v15
	s_delay_alu instid0(VALU_DEP_1) | instskip(NEXT) | instid1(VALU_DEP_1)
	v_cndmask_b32_e64 v48, 0, 0xffffffe0, s0
	v_dual_mov_b32 v0, v43 :: v_dual_add_nc_u32 v15, v48, v15
	s_delay_alu instid0(VALU_DEP_1) | instskip(NEXT) | instid1(VALU_DEP_2)
	v_mad_u64_u32 v[43:44], null, 0xdb629599, v9, v[0:1]
	v_cmp_lt_u32_e64 s1, 31, v15
	s_delay_alu instid0(VALU_DEP_2) | instskip(NEXT) | instid1(VALU_DEP_1)
	v_dual_mov_b32 v0, v44 :: v_dual_cndmask_b32 v41, v43, v41
	v_mad_u64_u32 v[44:45], null, 0xf534ddc0, v9, v[0:1]
	s_delay_alu instid0(VALU_DEP_1) | instskip(NEXT) | instid1(VALU_DEP_1)
	v_mov_b32_e32 v0, v45
	v_mad_u64_u32 v[45:46], null, 0xfc2757d1, v9, v[0:1]
	s_delay_alu instid0(VALU_DEP_1) | instskip(NEXT) | instid1(VALU_DEP_1)
	v_mov_b32_e32 v0, v46
	;; [unrolled: 3-line block ×3, first 2 shown]
	v_mad_u64_u32 v[47:48], null, 0xa2f9836e, v9, v[0:1]
	v_cndmask_b32_e64 v0, 0, 0xffffffe0, s1
	s_delay_alu instid0(VALU_DEP_1) | instskip(SKIP_1) | instid1(VALU_DEP_4)
	v_dual_cndmask_b32 v9, v46, v44 :: v_dual_add_nc_u32 v0, v0, v15
	v_cndmask_b32_e32 v15, v44, v42, vcc_lo
	v_dual_cndmask_b32 v47, v47, v45 :: v_dual_cndmask_b32 v46, v48, v46
	v_cndmask_b32_e32 v45, v45, v43, vcc_lo
	s_delay_alu instid0(VALU_DEP_4) | instskip(NEXT) | instid1(VALU_DEP_3)
	v_cmp_eq_u32_e64 s2, 0, v0
	v_cndmask_b32_e64 v42, v47, v9, s0
	s_delay_alu instid0(VALU_DEP_4) | instskip(NEXT) | instid1(VALU_DEP_4)
	v_cndmask_b32_e64 v44, v46, v47, s0
	v_cndmask_b32_e64 v9, v9, v45, s0
	v_sub_nc_u32_e32 v46, 32, v0
	v_cndmask_b32_e64 v45, v45, v15, s0
	v_cndmask_b32_e64 v15, v15, v41, s0
	;; [unrolled: 1-line block ×4, first 2 shown]
	s_delay_alu instid0(VALU_DEP_4) | instskip(NEXT) | instid1(VALU_DEP_4)
	v_cndmask_b32_e64 v9, v9, v45, s1
	v_cndmask_b32_e64 v15, v45, v15, s1
	s_delay_alu instid0(VALU_DEP_3) | instskip(NEXT) | instid1(VALU_DEP_3)
	v_alignbit_b32 v47, v44, v42, v46
	v_alignbit_b32 v48, v42, v9, v46
	s_delay_alu instid0(VALU_DEP_3) | instskip(NEXT) | instid1(VALU_DEP_3)
	v_alignbit_b32 v46, v9, v15, v46
	v_cndmask_b32_e64 v0, v47, v44, s2
	s_delay_alu instid0(VALU_DEP_3) | instskip(NEXT) | instid1(VALU_DEP_3)
	v_cndmask_b32_e64 v42, v48, v42, s2
	v_cndmask_b32_e64 v9, v46, v9, s2
	s_delay_alu instid0(VALU_DEP_3) | instskip(NEXT) | instid1(VALU_DEP_3)
	v_bfe_u32 v43, v0, 29, 1
	v_alignbit_b32 v41, v0, v42, 30
	s_delay_alu instid0(VALU_DEP_3) | instskip(SKIP_1) | instid1(VALU_DEP_4)
	v_alignbit_b32 v42, v42, v9, 30
	v_alignbit_b32 v9, v9, v15, 30
	v_sub_nc_u32_e32 v44, 0, v43
	s_delay_alu instid0(VALU_DEP_1) | instskip(SKIP_3) | instid1(VALU_DEP_4)
	v_xor_b32_e32 v45, v41, v44
	v_cmp_ne_u32_e32 vcc_lo, v41, v44
	v_xor_b32_e32 v15, v42, v44
	v_xor_b32_e32 v9, v9, v44
	v_clz_i32_u32_e32 v47, v45
	s_delay_alu instid0(VALU_DEP_1) | instskip(NEXT) | instid1(VALU_DEP_1)
	v_add_nc_u32_e32 v46, 1, v47
	v_cndmask_b32_e32 v41, 33, v46, vcc_lo
	s_delay_alu instid0(VALU_DEP_1) | instskip(NEXT) | instid1(VALU_DEP_1)
	v_sub_nc_u32_e32 v42, 32, v41
	v_alignbit_b32 v44, v45, v15, v42
	v_alignbit_b32 v9, v15, v9, v42
	v_lshrrev_b32_e32 v15, 29, v0
	s_delay_alu instid0(VALU_DEP_2) | instskip(NEXT) | instid1(VALU_DEP_2)
	v_alignbit_b32 v42, v44, v9, 9
	v_lshlrev_b32_e32 v15, 31, v15
	v_alignbit_b32 v44, v41, v44, 9
	s_delay_alu instid0(VALU_DEP_3) | instskip(NEXT) | instid1(VALU_DEP_2)
	v_clz_i32_u32_e32 v45, v42
	v_or_b32_e32 v44, v44, v15
	v_or_b32_e32 v15, 0x33800000, v15
	s_delay_alu instid0(VALU_DEP_3) | instskip(NEXT) | instid1(VALU_DEP_3)
	v_min_u32_e32 v45, 32, v45
	v_xor_b32_e32 v44, 1.0, v44
	s_delay_alu instid0(VALU_DEP_2) | instskip(SKIP_1) | instid1(VALU_DEP_3)
	v_sub_nc_u32_e32 v46, 31, v45
	v_add_lshl_u32 v41, v45, v41, 23
	v_mul_f32_e32 v45, 0x3fc90fda, v44
	s_delay_alu instid0(VALU_DEP_3) | instskip(NEXT) | instid1(VALU_DEP_3)
	v_alignbit_b32 v9, v42, v9, v46
	v_sub_nc_u32_e32 v15, v15, v41
	s_delay_alu instid0(VALU_DEP_3) | instskip(NEXT) | instid1(VALU_DEP_3)
	v_fma_f32 v41, 0x3fc90fda, v44, -v45
	v_lshrrev_b32_e32 v9, 9, v9
	s_delay_alu instid0(VALU_DEP_2) | instskip(NEXT) | instid1(VALU_DEP_2)
	v_fmac_f32_e32 v41, 0x33a22168, v44
	v_or_b32_e32 v9, v15, v9
	s_delay_alu instid0(VALU_DEP_1) | instskip(SKIP_1) | instid1(VALU_DEP_2)
	v_fmac_f32_e32 v41, 0x3fc90fda, v9
	v_lshrrev_b32_e32 v9, 30, v0
	v_add_f32_e32 v0, v45, v41
	s_delay_alu instid0(VALU_DEP_2)
	v_add_nc_u32_e32 v9, v43, v9
.LBB8_22:                               ;   in Loop: Header=BB8_9 Depth=1
	s_and_not1_saveexec_b32 s0, s20
; %bb.23:                               ;   in Loop: Header=BB8_9 Depth=1
	v_mul_f32_e64 v0, 0x3f22f983, |v5|
	s_delay_alu instid0(VALU_DEP_1) | instskip(NEXT) | instid1(VALU_DEP_1)
	v_rndne_f32_e32 v9, v0
	v_fma_f32 v0, 0xbfc90fda, v9, |v5|
	s_delay_alu instid0(VALU_DEP_1) | instskip(NEXT) | instid1(VALU_DEP_1)
	v_fmac_f32_e32 v0, 0xb3a22168, v9
	v_fmac_f32_e32 v0, 0xa7c234c4, v9
	v_cvt_i32_f32_e32 v9, v9
; %bb.24:                               ;   in Loop: Header=BB8_9 Depth=1
	s_or_b32 exec_lo, exec_lo, s0
	s_delay_alu instid0(VALU_DEP_2) | instskip(NEXT) | instid1(VALU_DEP_2)
	v_mul_f32_e32 v15, v0, v0
	v_and_b32_e32 v9, 1, v9
	s_delay_alu instid0(VALU_DEP_2) | instskip(SKIP_1) | instid1(VALU_DEP_3)
	v_fmaak_f32 v41, s17, v15, 0xbf039337
	v_fmaak_f32 v42, s15, v15, 0x3ec54587
	v_cmp_eq_u32_e32 vcc_lo, 0, v9
	v_add_nc_u32_e32 v9, s18, v38
	s_delay_alu instid0(VALU_DEP_4) | instskip(NEXT) | instid1(VALU_DEP_1)
	v_fmaak_f32 v41, v15, v41, 0x3f93f425
	v_rcp_f32_e32 v41, v41
	s_waitcnt_depctr 0xfff
	v_mul_f32_e32 v41, v42, v41
	s_delay_alu instid0(VALU_DEP_1) | instskip(NEXT) | instid1(VALU_DEP_1)
	v_mul_f32_e32 v15, v15, v41
	v_fma_f32 v41, v15, v0, v0
	s_delay_alu instid0(VALU_DEP_1) | instskip(SKIP_1) | instid1(VALU_DEP_1)
	v_rcp_f32_e32 v42, v41
	v_sub_f32_e32 v43, v41, v0
	v_fma_f32 v0, v15, v0, -v43
	s_waitcnt_depctr 0xfff
	v_fma_f32 v15, v41, -v42, 1.0
	s_delay_alu instid0(VALU_DEP_1) | instskip(NEXT) | instid1(VALU_DEP_1)
	v_fma_f32 v0, v0, -v42, v15
	v_fma_f32 v0, v0, -v42, -v42
	s_delay_alu instid0(VALU_DEP_1) | instskip(SKIP_1) | instid1(VALU_DEP_2)
	v_cndmask_b32_e32 v0, v0, v41, vcc_lo
	v_cmp_class_f32_e64 vcc_lo, v5, 0x1f8
	v_xor3_b32 v0, v6, v5, v0
	v_ashrrev_i32_e32 v6, 31, v9
	s_delay_alu instid0(VALU_DEP_2) | instskip(SKIP_1) | instid1(VALU_DEP_3)
	v_cndmask_b32_e32 v0, 0x7fc00000, v0, vcc_lo
	v_add_co_u32 v5, vcc_lo, s12, v9
	v_add_co_ci_u32_e32 v6, vcc_lo, s13, v6, vcc_lo
	s_delay_alu instid0(VALU_DEP_3)
	v_fma_mixlo_f16 v0, s10, v0, s9
	global_store_b16 v[5:6], v0, off
.LBB8_25:                               ;   in Loop: Header=BB8_9 Depth=1
	s_or_b32 exec_lo, exec_lo, s19
	v_add_co_u32 v5, vcc_lo, s14, v12
	v_add_co_ci_u32_e32 v6, vcc_lo, 0, v13, vcc_lo
	s_mov_b32 s19, exec_lo
	s_delay_alu instid0(VALU_DEP_1)
	v_cmpx_gt_i64_e64 s[4:5], v[5:6]
	s_cbranch_execz .LBB8_8
; %bb.26:                               ;   in Loop: Header=BB8_9 Depth=1
	v_lshrrev_b32_e32 v0, 11, v8
	v_cvt_f64_u32_e32 v[7:8], v7
	s_mov_b32 s1, exec_lo
	s_delay_alu instid0(VALU_DEP_2) | instskip(NEXT) | instid1(VALU_DEP_1)
	v_cvt_f64_u32_e32 v[5:6], v0
	v_ldexp_f64 v[5:6], v[5:6], 32
	s_delay_alu instid0(VALU_DEP_1) | instskip(NEXT) | instid1(VALU_DEP_1)
	v_add_f64 v[5:6], v[5:6], v[7:8]
                                        ; implicit-def: $vgpr7
	v_fma_f64 v[5:6], 0x3ca00000, v[5:6], 0x3ca00000
	s_delay_alu instid0(VALU_DEP_1) | instskip(NEXT) | instid1(VALU_DEP_1)
	v_cvt_f32_f64_e32 v0, v[5:6]
	v_cmp_nlt_f32_e32 vcc_lo, 0x3f7ffffe, v0
	v_cndmask_b32_e32 v0, 0x3f7ffffe, v0, vcc_lo
	s_delay_alu instid0(VALU_DEP_1) | instskip(SKIP_1) | instid1(VALU_DEP_1)
	v_cmp_ngt_f32_e32 vcc_lo, 0x34000000, v0
	v_cndmask_b32_e32 v0, 0x34000000, v0, vcc_lo
	v_add_f32_e32 v0, -0.5, v0
	s_delay_alu instid0(VALU_DEP_1) | instskip(NEXT) | instid1(VALU_DEP_1)
	v_mul_f32_e32 v5, 0x40490fdb, v0
                                        ; implicit-def: $vgpr0
	v_and_b32_e32 v6, 0x7fffffff, v5
	v_cmpx_ngt_f32_e64 0x48000000, |v5|
	s_xor_b32 s20, exec_lo, s1
	s_cbranch_execz .LBB8_28
; %bb.27:                               ;   in Loop: Header=BB8_9 Depth=1
	s_delay_alu instid0(VALU_DEP_2) | instskip(NEXT) | instid1(VALU_DEP_1)
	v_and_or_b32 v15, v6, s11, 0x800000
	v_mad_u64_u32 v[7:8], null, 0xfe5163ab, v15, 0
	s_delay_alu instid0(VALU_DEP_1) | instskip(NEXT) | instid1(VALU_DEP_1)
	v_mov_b32_e32 v0, v8
	v_mad_u64_u32 v[8:9], null, 0x3c439041, v15, v[0:1]
	s_delay_alu instid0(VALU_DEP_1) | instskip(SKIP_1) | instid1(VALU_DEP_1)
	v_mov_b32_e32 v0, v9
	v_lshrrev_b32_e32 v9, 23, v6
	v_add_nc_u32_e32 v9, 0xffffff88, v9
	s_delay_alu instid0(VALU_DEP_1) | instskip(SKIP_1) | instid1(VALU_DEP_1)
	v_cmp_lt_u32_e32 vcc_lo, 63, v9
	v_cndmask_b32_e64 v45, 0, 0xffffffc0, vcc_lo
	v_add_nc_u32_e32 v9, v45, v9
	s_delay_alu instid0(VALU_DEP_1) | instskip(NEXT) | instid1(VALU_DEP_1)
	v_cmp_lt_u32_e64 s0, 31, v9
	v_cndmask_b32_e64 v46, 0, 0xffffffe0, s0
	s_delay_alu instid0(VALU_DEP_1) | instskip(SKIP_1) | instid1(VALU_DEP_2)
	v_add_nc_u32_e32 v9, v46, v9
	v_mad_u64_u32 v[41:42], null, 0xdb629599, v15, v[0:1]
	v_cmp_lt_u32_e64 s1, 31, v9
	s_delay_alu instid0(VALU_DEP_2) | instskip(NEXT) | instid1(VALU_DEP_1)
	v_dual_mov_b32 v0, v42 :: v_dual_cndmask_b32 v7, v41, v7
	v_mad_u64_u32 v[42:43], null, 0xf534ddc0, v15, v[0:1]
	s_delay_alu instid0(VALU_DEP_1) | instskip(NEXT) | instid1(VALU_DEP_2)
	v_mov_b32_e32 v0, v43
	v_cndmask_b32_e32 v8, v42, v8, vcc_lo
	s_delay_alu instid0(VALU_DEP_2) | instskip(NEXT) | instid1(VALU_DEP_2)
	v_mad_u64_u32 v[43:44], null, 0xfc2757d1, v15, v[0:1]
	v_cndmask_b32_e64 v7, v8, v7, s0
	s_delay_alu instid0(VALU_DEP_2) | instskip(NEXT) | instid1(VALU_DEP_1)
	v_mov_b32_e32 v0, v44
	v_mad_u64_u32 v[44:45], null, 0x4e441529, v15, v[0:1]
	s_delay_alu instid0(VALU_DEP_1) | instskip(NEXT) | instid1(VALU_DEP_1)
	v_mov_b32_e32 v0, v45
	v_mad_u64_u32 v[45:46], null, 0xa2f9836e, v15, v[0:1]
	v_cndmask_b32_e64 v0, 0, 0xffffffe0, s1
	s_delay_alu instid0(VALU_DEP_4) | instskip(NEXT) | instid1(VALU_DEP_2)
	v_cndmask_b32_e32 v15, v44, v42, vcc_lo
	v_dual_cndmask_b32 v45, v45, v43 :: v_dual_add_nc_u32 v0, v0, v9
	s_delay_alu instid0(VALU_DEP_4) | instskip(NEXT) | instid1(VALU_DEP_2)
	v_dual_cndmask_b32 v44, v46, v44 :: v_dual_cndmask_b32 v43, v43, v41
	v_cmp_eq_u32_e64 s2, 0, v0
	s_delay_alu instid0(VALU_DEP_3) | instskip(NEXT) | instid1(VALU_DEP_3)
	v_cndmask_b32_e64 v9, v45, v15, s0
	v_cndmask_b32_e64 v42, v44, v45, s0
	s_delay_alu instid0(VALU_DEP_4) | instskip(SKIP_2) | instid1(VALU_DEP_4)
	v_cndmask_b32_e64 v15, v15, v43, s0
	v_sub_nc_u32_e32 v44, 32, v0
	v_cndmask_b32_e64 v43, v43, v8, s0
	v_cndmask_b32_e64 v42, v42, v9, s1
	s_delay_alu instid0(VALU_DEP_4) | instskip(NEXT) | instid1(VALU_DEP_3)
	v_cndmask_b32_e64 v9, v9, v15, s1
	v_cndmask_b32_e64 v15, v15, v43, s1
	;; [unrolled: 1-line block ×3, first 2 shown]
	s_delay_alu instid0(VALU_DEP_3) | instskip(NEXT) | instid1(VALU_DEP_3)
	v_alignbit_b32 v45, v42, v9, v44
	v_alignbit_b32 v46, v9, v15, v44
	s_delay_alu instid0(VALU_DEP_3) | instskip(NEXT) | instid1(VALU_DEP_3)
	v_alignbit_b32 v44, v15, v7, v44
	v_cndmask_b32_e64 v0, v45, v42, s2
	s_delay_alu instid0(VALU_DEP_3) | instskip(NEXT) | instid1(VALU_DEP_3)
	v_cndmask_b32_e64 v9, v46, v9, s2
	v_cndmask_b32_e64 v15, v44, v15, s2
	s_delay_alu instid0(VALU_DEP_3) | instskip(NEXT) | instid1(VALU_DEP_3)
	v_bfe_u32 v41, v0, 29, 1
	v_alignbit_b32 v8, v0, v9, 30
	s_delay_alu instid0(VALU_DEP_3) | instskip(SKIP_1) | instid1(VALU_DEP_4)
	v_alignbit_b32 v9, v9, v15, 30
	v_alignbit_b32 v7, v15, v7, 30
	v_sub_nc_u32_e32 v42, 0, v41
	s_delay_alu instid0(VALU_DEP_1) | instskip(SKIP_3) | instid1(VALU_DEP_4)
	v_xor_b32_e32 v43, v8, v42
	v_cmp_ne_u32_e32 vcc_lo, v8, v42
	v_xor_b32_e32 v9, v9, v42
	v_xor_b32_e32 v7, v7, v42
	v_clz_i32_u32_e32 v45, v43
	s_delay_alu instid0(VALU_DEP_1) | instskip(NEXT) | instid1(VALU_DEP_1)
	v_add_nc_u32_e32 v44, 1, v45
	v_cndmask_b32_e32 v8, 33, v44, vcc_lo
	s_delay_alu instid0(VALU_DEP_1) | instskip(NEXT) | instid1(VALU_DEP_1)
	v_sub_nc_u32_e32 v15, 32, v8
	v_alignbit_b32 v42, v43, v9, v15
	v_alignbit_b32 v7, v9, v7, v15
	v_lshrrev_b32_e32 v9, 29, v0
	s_delay_alu instid0(VALU_DEP_2) | instskip(NEXT) | instid1(VALU_DEP_2)
	v_alignbit_b32 v15, v42, v7, 9
	v_lshlrev_b32_e32 v9, 31, v9
	v_alignbit_b32 v42, v8, v42, 9
	s_delay_alu instid0(VALU_DEP_3) | instskip(NEXT) | instid1(VALU_DEP_2)
	v_clz_i32_u32_e32 v43, v15
	v_or_b32_e32 v42, v42, v9
	v_or_b32_e32 v9, 0x33800000, v9
	s_delay_alu instid0(VALU_DEP_3) | instskip(NEXT) | instid1(VALU_DEP_3)
	v_min_u32_e32 v43, 32, v43
	v_xor_b32_e32 v42, 1.0, v42
	s_delay_alu instid0(VALU_DEP_2) | instskip(SKIP_1) | instid1(VALU_DEP_3)
	v_sub_nc_u32_e32 v44, 31, v43
	v_add_lshl_u32 v8, v43, v8, 23
	v_mul_f32_e32 v43, 0x3fc90fda, v42
	s_delay_alu instid0(VALU_DEP_3) | instskip(NEXT) | instid1(VALU_DEP_3)
	v_alignbit_b32 v7, v15, v7, v44
	v_sub_nc_u32_e32 v8, v9, v8
	s_delay_alu instid0(VALU_DEP_3) | instskip(NEXT) | instid1(VALU_DEP_3)
	v_fma_f32 v9, 0x3fc90fda, v42, -v43
	v_lshrrev_b32_e32 v7, 9, v7
	s_delay_alu instid0(VALU_DEP_2) | instskip(NEXT) | instid1(VALU_DEP_2)
	v_fmac_f32_e32 v9, 0x33a22168, v42
	v_or_b32_e32 v7, v8, v7
	s_delay_alu instid0(VALU_DEP_1) | instskip(SKIP_1) | instid1(VALU_DEP_1)
	v_fmac_f32_e32 v9, 0x3fc90fda, v7
	v_lshrrev_b32_e32 v7, 30, v0
	v_dual_add_f32 v0, v43, v9 :: v_dual_add_nc_u32 v7, v41, v7
.LBB8_28:                               ;   in Loop: Header=BB8_9 Depth=1
	s_and_not1_saveexec_b32 s0, s20
	s_cbranch_execz .LBB8_7
; %bb.29:                               ;   in Loop: Header=BB8_9 Depth=1
	v_mul_f32_e64 v0, 0x3f22f983, |v5|
	s_delay_alu instid0(VALU_DEP_1) | instskip(NEXT) | instid1(VALU_DEP_1)
	v_rndne_f32_e32 v7, v0
	v_fma_f32 v0, 0xbfc90fda, v7, |v5|
	s_delay_alu instid0(VALU_DEP_1) | instskip(NEXT) | instid1(VALU_DEP_1)
	v_fmac_f32_e32 v0, 0xb3a22168, v7
	v_fmac_f32_e32 v0, 0xa7c234c4, v7
	v_cvt_i32_f32_e32 v7, v7
	s_branch .LBB8_7
.LBB8_30:
	s_endpgm
.LBB8_31:
                                        ; implicit-def: $sgpr2_sgpr3
	s_branch .LBB8_4
	.section	.rodata,"a",@progbits
	.p2align	6, 0x0
	.amdhsa_kernel _ZN2at6native12_GLOBAL__N_143distribution_elementwise_grid_stride_kernelIfLi4EZNS0_9templates4cuda21uniform_and_transformIN3c104HalfEfPNS_17CUDAGeneratorImplEZZZNS4_13cauchy_kernelIS9_EEvRNS_18TensorIteratorBaseEddT_ENKUlvE_clEvENKUlvE1_clEvEUlfE_EEvSC_T1_T2_EUlP25hiprandStatePhilox4_32_10E_ZNS1_27distribution_nullary_kernelIS7_f15HIP_vector_typeIdLj2EES9_SL_SG_EEvSC_SI_RKT3_T4_EUlifE_EEvlNS_15PhiloxCudaStateESH_SI_
		.amdhsa_group_segment_fixed_size 0
		.amdhsa_private_segment_fixed_size 0
		.amdhsa_kernarg_size 328
		.amdhsa_user_sgpr_count 15
		.amdhsa_user_sgpr_dispatch_ptr 0
		.amdhsa_user_sgpr_queue_ptr 0
		.amdhsa_user_sgpr_kernarg_segment_ptr 1
		.amdhsa_user_sgpr_dispatch_id 0
		.amdhsa_user_sgpr_private_segment_size 0
		.amdhsa_wavefront_size32 1
		.amdhsa_uses_dynamic_stack 0
		.amdhsa_enable_private_segment 0
		.amdhsa_system_sgpr_workgroup_id_x 1
		.amdhsa_system_sgpr_workgroup_id_y 0
		.amdhsa_system_sgpr_workgroup_id_z 0
		.amdhsa_system_sgpr_workgroup_info 0
		.amdhsa_system_vgpr_workitem_id 0
		.amdhsa_next_free_vgpr 49
		.amdhsa_next_free_sgpr 23
		.amdhsa_reserve_vcc 1
		.amdhsa_float_round_mode_32 0
		.amdhsa_float_round_mode_16_64 0
		.amdhsa_float_denorm_mode_32 3
		.amdhsa_float_denorm_mode_16_64 3
		.amdhsa_dx10_clamp 1
		.amdhsa_ieee_mode 1
		.amdhsa_fp16_overflow 0
		.amdhsa_workgroup_processor_mode 1
		.amdhsa_memory_ordered 1
		.amdhsa_forward_progress 0
		.amdhsa_shared_vgpr_count 0
		.amdhsa_exception_fp_ieee_invalid_op 0
		.amdhsa_exception_fp_denorm_src 0
		.amdhsa_exception_fp_ieee_div_zero 0
		.amdhsa_exception_fp_ieee_overflow 0
		.amdhsa_exception_fp_ieee_underflow 0
		.amdhsa_exception_fp_ieee_inexact 0
		.amdhsa_exception_int_div_zero 0
	.end_amdhsa_kernel
	.section	.text._ZN2at6native12_GLOBAL__N_143distribution_elementwise_grid_stride_kernelIfLi4EZNS0_9templates4cuda21uniform_and_transformIN3c104HalfEfPNS_17CUDAGeneratorImplEZZZNS4_13cauchy_kernelIS9_EEvRNS_18TensorIteratorBaseEddT_ENKUlvE_clEvENKUlvE1_clEvEUlfE_EEvSC_T1_T2_EUlP25hiprandStatePhilox4_32_10E_ZNS1_27distribution_nullary_kernelIS7_f15HIP_vector_typeIdLj2EES9_SL_SG_EEvSC_SI_RKT3_T4_EUlifE_EEvlNS_15PhiloxCudaStateESH_SI_,"axG",@progbits,_ZN2at6native12_GLOBAL__N_143distribution_elementwise_grid_stride_kernelIfLi4EZNS0_9templates4cuda21uniform_and_transformIN3c104HalfEfPNS_17CUDAGeneratorImplEZZZNS4_13cauchy_kernelIS9_EEvRNS_18TensorIteratorBaseEddT_ENKUlvE_clEvENKUlvE1_clEvEUlfE_EEvSC_T1_T2_EUlP25hiprandStatePhilox4_32_10E_ZNS1_27distribution_nullary_kernelIS7_f15HIP_vector_typeIdLj2EES9_SL_SG_EEvSC_SI_RKT3_T4_EUlifE_EEvlNS_15PhiloxCudaStateESH_SI_,comdat
.Lfunc_end8:
	.size	_ZN2at6native12_GLOBAL__N_143distribution_elementwise_grid_stride_kernelIfLi4EZNS0_9templates4cuda21uniform_and_transformIN3c104HalfEfPNS_17CUDAGeneratorImplEZZZNS4_13cauchy_kernelIS9_EEvRNS_18TensorIteratorBaseEddT_ENKUlvE_clEvENKUlvE1_clEvEUlfE_EEvSC_T1_T2_EUlP25hiprandStatePhilox4_32_10E_ZNS1_27distribution_nullary_kernelIS7_f15HIP_vector_typeIdLj2EES9_SL_SG_EEvSC_SI_RKT3_T4_EUlifE_EEvlNS_15PhiloxCudaStateESH_SI_, .Lfunc_end8-_ZN2at6native12_GLOBAL__N_143distribution_elementwise_grid_stride_kernelIfLi4EZNS0_9templates4cuda21uniform_and_transformIN3c104HalfEfPNS_17CUDAGeneratorImplEZZZNS4_13cauchy_kernelIS9_EEvRNS_18TensorIteratorBaseEddT_ENKUlvE_clEvENKUlvE1_clEvEUlfE_EEvSC_T1_T2_EUlP25hiprandStatePhilox4_32_10E_ZNS1_27distribution_nullary_kernelIS7_f15HIP_vector_typeIdLj2EES9_SL_SG_EEvSC_SI_RKT3_T4_EUlifE_EEvlNS_15PhiloxCudaStateESH_SI_
                                        ; -- End function
	.section	.AMDGPU.csdata,"",@progbits
; Kernel info:
; codeLenInByte = 4796
; NumSgprs: 25
; NumVgprs: 49
; ScratchSize: 0
; MemoryBound: 0
; FloatMode: 240
; IeeeMode: 1
; LDSByteSize: 0 bytes/workgroup (compile time only)
; SGPRBlocks: 3
; VGPRBlocks: 6
; NumSGPRsForWavesPerEU: 25
; NumVGPRsForWavesPerEU: 49
; Occupancy: 16
; WaveLimiterHint : 0
; COMPUTE_PGM_RSRC2:SCRATCH_EN: 0
; COMPUTE_PGM_RSRC2:USER_SGPR: 15
; COMPUTE_PGM_RSRC2:TRAP_HANDLER: 0
; COMPUTE_PGM_RSRC2:TGID_X_EN: 1
; COMPUTE_PGM_RSRC2:TGID_Y_EN: 0
; COMPUTE_PGM_RSRC2:TGID_Z_EN: 0
; COMPUTE_PGM_RSRC2:TIDIG_COMP_CNT: 0
	.section	.text._ZN2at6native12_GLOBAL__N_143distribution_elementwise_grid_stride_kernelIfLi4EZNS0_9templates4cuda21uniform_and_transformIN3c104HalfEfPNS_17CUDAGeneratorImplEZZZNS4_13cauchy_kernelIS9_EEvRNS_18TensorIteratorBaseEddT_ENKUlvE_clEvENKUlvE1_clEvEUlfE_EEvSC_T1_T2_EUlP25hiprandStatePhilox4_32_10E_ZNS1_27distribution_nullary_kernelIS7_f15HIP_vector_typeIdLj2EES9_SL_SG_EEvSC_SI_RKT3_T4_EUlifE0_EEvlNS_15PhiloxCudaStateESH_SI_,"axG",@progbits,_ZN2at6native12_GLOBAL__N_143distribution_elementwise_grid_stride_kernelIfLi4EZNS0_9templates4cuda21uniform_and_transformIN3c104HalfEfPNS_17CUDAGeneratorImplEZZZNS4_13cauchy_kernelIS9_EEvRNS_18TensorIteratorBaseEddT_ENKUlvE_clEvENKUlvE1_clEvEUlfE_EEvSC_T1_T2_EUlP25hiprandStatePhilox4_32_10E_ZNS1_27distribution_nullary_kernelIS7_f15HIP_vector_typeIdLj2EES9_SL_SG_EEvSC_SI_RKT3_T4_EUlifE0_EEvlNS_15PhiloxCudaStateESH_SI_,comdat
	.globl	_ZN2at6native12_GLOBAL__N_143distribution_elementwise_grid_stride_kernelIfLi4EZNS0_9templates4cuda21uniform_and_transformIN3c104HalfEfPNS_17CUDAGeneratorImplEZZZNS4_13cauchy_kernelIS9_EEvRNS_18TensorIteratorBaseEddT_ENKUlvE_clEvENKUlvE1_clEvEUlfE_EEvSC_T1_T2_EUlP25hiprandStatePhilox4_32_10E_ZNS1_27distribution_nullary_kernelIS7_f15HIP_vector_typeIdLj2EES9_SL_SG_EEvSC_SI_RKT3_T4_EUlifE0_EEvlNS_15PhiloxCudaStateESH_SI_ ; -- Begin function _ZN2at6native12_GLOBAL__N_143distribution_elementwise_grid_stride_kernelIfLi4EZNS0_9templates4cuda21uniform_and_transformIN3c104HalfEfPNS_17CUDAGeneratorImplEZZZNS4_13cauchy_kernelIS9_EEvRNS_18TensorIteratorBaseEddT_ENKUlvE_clEvENKUlvE1_clEvEUlfE_EEvSC_T1_T2_EUlP25hiprandStatePhilox4_32_10E_ZNS1_27distribution_nullary_kernelIS7_f15HIP_vector_typeIdLj2EES9_SL_SG_EEvSC_SI_RKT3_T4_EUlifE0_EEvlNS_15PhiloxCudaStateESH_SI_
	.p2align	8
	.type	_ZN2at6native12_GLOBAL__N_143distribution_elementwise_grid_stride_kernelIfLi4EZNS0_9templates4cuda21uniform_and_transformIN3c104HalfEfPNS_17CUDAGeneratorImplEZZZNS4_13cauchy_kernelIS9_EEvRNS_18TensorIteratorBaseEddT_ENKUlvE_clEvENKUlvE1_clEvEUlfE_EEvSC_T1_T2_EUlP25hiprandStatePhilox4_32_10E_ZNS1_27distribution_nullary_kernelIS7_f15HIP_vector_typeIdLj2EES9_SL_SG_EEvSC_SI_RKT3_T4_EUlifE0_EEvlNS_15PhiloxCudaStateESH_SI_,@function
_ZN2at6native12_GLOBAL__N_143distribution_elementwise_grid_stride_kernelIfLi4EZNS0_9templates4cuda21uniform_and_transformIN3c104HalfEfPNS_17CUDAGeneratorImplEZZZNS4_13cauchy_kernelIS9_EEvRNS_18TensorIteratorBaseEddT_ENKUlvE_clEvENKUlvE1_clEvEUlfE_EEvSC_T1_T2_EUlP25hiprandStatePhilox4_32_10E_ZNS1_27distribution_nullary_kernelIS7_f15HIP_vector_typeIdLj2EES9_SL_SG_EEvSC_SI_RKT3_T4_EUlifE0_EEvlNS_15PhiloxCudaStateESH_SI_: ; @_ZN2at6native12_GLOBAL__N_143distribution_elementwise_grid_stride_kernelIfLi4EZNS0_9templates4cuda21uniform_and_transformIN3c104HalfEfPNS_17CUDAGeneratorImplEZZZNS4_13cauchy_kernelIS9_EEvRNS_18TensorIteratorBaseEddT_ENKUlvE_clEvENKUlvE1_clEvEUlfE_EEvSC_T1_T2_EUlP25hiprandStatePhilox4_32_10E_ZNS1_27distribution_nullary_kernelIS7_f15HIP_vector_typeIdLj2EES9_SL_SG_EEvSC_SI_RKT3_T4_EUlifE0_EEvlNS_15PhiloxCudaStateESH_SI_
; %bb.0:
	s_clause 0x2
	s_load_b64 s[4:5], s[0:1], 0x10
	s_load_b128 s[16:19], s[0:1], 0x0
	s_load_b32 s2, s[0:1], 0x20
	s_waitcnt lgkmcnt(0)
	v_dual_mov_b32 v2, s4 :: v_dual_mov_b32 v3, s5
	v_dual_mov_b32 v10, s18 :: v_dual_mov_b32 v11, s19
	s_bitcmp0_b32 s2, 0
	s_mov_b32 s2, 0
	s_cbranch_scc1 .LBB9_2
; %bb.1:
	v_dual_mov_b32 v1, s4 :: v_dual_mov_b32 v2, s5
	v_dual_mov_b32 v4, s18 :: v_dual_mov_b32 v5, s19
	s_load_b64 s[4:5], s[0:1], 0x18
	flat_load_b64 v[2:3], v[1:2]
	flat_load_b64 v[10:11], v[4:5]
	s_waitcnt vmcnt(1) lgkmcnt(0)
	v_add_co_u32 v2, vcc_lo, v2, s4
	v_add_co_ci_u32_e32 v3, vcc_lo, s5, v3, vcc_lo
.LBB9_2:
	s_clause 0x1
	s_load_b32 s3, s[0:1], 0x154
	s_load_b32 s4, s[0:1], 0x148
	s_waitcnt lgkmcnt(0)
	s_and_b32 s5, s3, 0xffff
	s_add_u32 s6, s16, -1
	s_mul_i32 s26, s4, s5
	s_addc_u32 s3, s17, -1
	s_lshl_b32 s27, s26, 2
	s_cmp_lg_u64 s[2:3], 0
	s_cbranch_scc0 .LBB9_57
; %bb.3:
	v_cvt_f32_ubyte0_e32 v1, 0
	v_cvt_f32_u32_e32 v4, s27
	s_sub_u32 s8, 0, s27
	s_subb_u32 s9, 0, 0
	s_delay_alu instid0(VALU_DEP_1) | instskip(NEXT) | instid1(VALU_DEP_1)
	v_fmamk_f32 v1, v1, 0x4f800000, v4
	v_rcp_f32_e32 v1, v1
	s_waitcnt_depctr 0xfff
	v_mul_f32_e32 v1, 0x5f7ffffc, v1
	s_delay_alu instid0(VALU_DEP_1) | instskip(NEXT) | instid1(VALU_DEP_1)
	v_mul_f32_e32 v4, 0x2f800000, v1
	v_trunc_f32_e32 v4, v4
	s_delay_alu instid0(VALU_DEP_1) | instskip(SKIP_1) | instid1(VALU_DEP_2)
	v_fmamk_f32 v1, v4, 0xcf800000, v1
	v_cvt_u32_f32_e32 v4, v4
	v_cvt_u32_f32_e32 v1, v1
	s_delay_alu instid0(VALU_DEP_2) | instskip(NEXT) | instid1(VALU_DEP_2)
	v_readfirstlane_b32 s2, v4
	v_readfirstlane_b32 s7, v1
	s_delay_alu instid0(VALU_DEP_2) | instskip(NEXT) | instid1(VALU_DEP_1)
	s_mul_i32 s10, s8, s2
	s_mul_hi_u32 s12, s8, s7
	s_mul_i32 s11, s9, s7
	s_add_i32 s10, s12, s10
	s_mul_i32 s13, s8, s7
	s_add_i32 s10, s10, s11
	s_mul_hi_u32 s12, s7, s13
	s_mul_hi_u32 s14, s2, s13
	s_mul_i32 s11, s2, s13
	s_mul_hi_u32 s13, s7, s10
	s_mul_i32 s7, s7, s10
	s_mul_hi_u32 s18, s2, s10
	s_add_u32 s7, s12, s7
	s_addc_u32 s12, 0, s13
	s_add_u32 s7, s7, s11
	s_mul_i32 s10, s2, s10
	s_addc_u32 s7, s12, s14
	s_addc_u32 s11, s18, 0
	s_add_u32 s7, s7, s10
	s_addc_u32 s10, 0, s11
	v_add_co_u32 v1, s7, v1, s7
	s_delay_alu instid0(VALU_DEP_1) | instskip(SKIP_1) | instid1(VALU_DEP_1)
	s_cmp_lg_u32 s7, 0
	s_addc_u32 s2, s2, s10
	v_readfirstlane_b32 s7, v1
	s_mul_i32 s10, s8, s2
	s_delay_alu instid0(VALU_DEP_1)
	s_mul_hi_u32 s11, s8, s7
	s_mul_i32 s9, s9, s7
	s_add_i32 s10, s11, s10
	s_mul_i32 s8, s8, s7
	s_add_i32 s10, s10, s9
	s_mul_hi_u32 s11, s2, s8
	s_mul_i32 s12, s2, s8
	s_mul_hi_u32 s8, s7, s8
	s_mul_hi_u32 s13, s7, s10
	s_mul_i32 s7, s7, s10
	s_mul_hi_u32 s9, s2, s10
	s_add_u32 s7, s8, s7
	s_addc_u32 s8, 0, s13
	s_add_u32 s7, s7, s12
	s_mul_i32 s10, s2, s10
	s_addc_u32 s7, s8, s11
	s_addc_u32 s8, s9, 0
	s_add_u32 s7, s7, s10
	s_addc_u32 s8, 0, s8
	v_add_co_u32 v1, s7, v1, s7
	s_delay_alu instid0(VALU_DEP_1) | instskip(SKIP_2) | instid1(VALU_DEP_1)
	s_cmp_lg_u32 s7, 0
	s_addc_u32 s7, s2, s8
	s_ashr_i32 s8, s3, 31
	v_readfirstlane_b32 s10, v1
	s_add_u32 s2, s6, s8
	s_mov_b32 s9, s8
	s_addc_u32 s3, s3, s8
	s_delay_alu instid0(SALU_CYCLE_1) | instskip(NEXT) | instid1(SALU_CYCLE_1)
	s_xor_b64 s[2:3], s[2:3], s[8:9]
	s_mul_i32 s12, s2, s7
	s_mul_hi_u32 s13, s2, s10
	s_mul_hi_u32 s11, s2, s7
	;; [unrolled: 1-line block ×3, first 2 shown]
	s_mul_i32 s10, s3, s10
	s_add_u32 s12, s13, s12
	s_addc_u32 s11, 0, s11
	s_mul_hi_u32 s14, s3, s7
	s_add_u32 s10, s12, s10
	s_mul_i32 s7, s3, s7
	s_addc_u32 s10, s11, s18
	s_addc_u32 s11, s14, 0
	s_add_u32 s7, s10, s7
	s_addc_u32 s10, 0, s11
	s_mul_i32 s12, s27, s7
	s_add_u32 s11, s7, 1
	v_sub_co_u32 v1, s2, s2, s12
	s_mul_hi_u32 s12, s27, s7
	s_addc_u32 s13, s10, 0
	s_mul_i32 s14, s27, s10
	s_delay_alu instid0(VALU_DEP_1)
	v_sub_co_u32 v4, s18, v1, s27
	s_add_u32 s19, s7, 2
	s_addc_u32 s20, s10, 0
	s_add_i32 s12, s12, s14
	s_cmp_lg_u32 s2, 0
	v_readfirstlane_b32 s2, v4
	s_subb_u32 s3, s3, s12
	s_cmp_lg_u32 s18, 0
	s_subb_u32 s12, s3, 0
	s_delay_alu instid0(VALU_DEP_1) | instskip(SKIP_4) | instid1(SALU_CYCLE_1)
	s_cmp_ge_u32 s2, s27
	s_cselect_b32 s2, -1, 0
	s_cmp_eq_u32 s12, 0
	v_readfirstlane_b32 s12, v1
	s_cselect_b32 s2, s2, -1
	s_cmp_lg_u32 s2, 0
	s_cselect_b32 s2, s19, s11
	s_cselect_b32 s11, s20, s13
	s_cmp_ge_u32 s12, s27
	s_cselect_b32 s12, -1, 0
	s_cmp_eq_u32 s3, 0
	s_cselect_b32 s3, s12, -1
	s_delay_alu instid0(SALU_CYCLE_1) | instskip(SKIP_2) | instid1(SALU_CYCLE_1)
	s_cmp_lg_u32 s3, 0
	s_cselect_b32 s3, s11, s10
	s_cselect_b32 s2, s2, s7
	s_xor_b64 s[2:3], s[2:3], s[8:9]
	s_delay_alu instid0(SALU_CYCLE_1)
	s_sub_u32 s2, s2, s8
	s_subb_u32 s3, s3, s8
	s_cbranch_execnz .LBB9_5
.LBB9_4:
	v_cvt_f32_u32_e32 v1, s27
	s_sub_i32 s3, 0, s27
	s_delay_alu instid0(VALU_DEP_1) | instskip(SKIP_2) | instid1(VALU_DEP_1)
	v_rcp_iflag_f32_e32 v1, v1
	s_waitcnt_depctr 0xfff
	v_mul_f32_e32 v1, 0x4f7ffffe, v1
	v_cvt_u32_f32_e32 v1, v1
	s_delay_alu instid0(VALU_DEP_1) | instskip(NEXT) | instid1(VALU_DEP_1)
	v_readfirstlane_b32 s2, v1
	s_mul_i32 s3, s3, s2
	s_delay_alu instid0(SALU_CYCLE_1) | instskip(NEXT) | instid1(SALU_CYCLE_1)
	s_mul_hi_u32 s3, s2, s3
	s_add_i32 s2, s2, s3
	s_delay_alu instid0(SALU_CYCLE_1) | instskip(NEXT) | instid1(SALU_CYCLE_1)
	s_mul_hi_u32 s2, s6, s2
	s_mul_i32 s3, s2, s27
	s_delay_alu instid0(SALU_CYCLE_1)
	s_sub_i32 s3, s6, s3
	s_add_i32 s6, s2, 1
	s_sub_i32 s7, s3, s27
	s_cmp_ge_u32 s3, s27
	s_cselect_b32 s2, s6, s2
	s_cselect_b32 s3, s7, s3
	s_add_i32 s6, s2, 1
	s_cmp_ge_u32 s3, s27
	s_mov_b32 s3, 0
	s_cselect_b32 s2, s6, s2
.LBB9_5:
	v_mov_b32_e32 v1, 0
	s_add_u32 s2, s2, 1
	s_addc_u32 s3, s3, 0
	s_mul_hi_u32 s6, s26, s2
	s_mul_i32 s3, s26, s3
	v_mad_u64_u32 v[12:13], null, s5, s15, v[0:1]
	s_mul_hi_u32 s4, s4, s5
	s_add_i32 s3, s6, s3
	s_mul_i32 s4, s4, s2
	s_mul_i32 s2, s26, s2
	s_add_i32 s3, s3, s4
	s_delay_alu instid0(SALU_CYCLE_1)
	s_lshl_b64 s[18:19], s[2:3], 2
	s_mov_b32 s2, exec_lo
	v_cmpx_gt_i64_e64 s[18:19], v[12:13]
	s_cbranch_execz .LBB9_56
; %bb.6:
	v_alignbit_b32 v17, v3, v2, 2
	v_mad_u64_u32 v[6:7], null, 0xcd9e8d57, v12, 0
	v_lshrrev_b32_e32 v18, 2, v3
	s_waitcnt vmcnt(0)
	v_dual_mov_b32 v16, v11 :: v_dual_and_b32 v25, 3, v2
	v_mad_u64_u32 v[4:5], null, 0xd2511f53, v17, 0
	v_add_co_u32 v20, null, 0x9e3779b9, v10
	v_xor3_b32 v3, v10, v7, v18
	s_delay_alu instid0(VALU_DEP_4) | instskip(SKIP_2) | instid1(VALU_DEP_4)
	v_add_co_u32 v19, null, 0xbb67ae85, v16
	v_add_co_u32 v21, null, 0x3c6ef372, v10
	v_xor_b32_e32 v0, v5, v11
	v_mad_u64_u32 v[7:8], null, 0xd2511f53, v3, 0
	v_add_co_u32 v22, null, 0x76cf5d0a, v16
	s_delay_alu instid0(VALU_DEP_3) | instskip(SKIP_2) | instid1(VALU_DEP_3)
	v_xor_b32_e32 v0, v0, v13
	v_add_co_u32 v23, null, 0x32370b8f, v16
	v_add_co_u32 v24, null, 0xdaa66d2b, v10
	v_mad_u64_u32 v[14:15], null, 0xcd9e8d57, v0, 0
	v_xor3_b32 v0, v19, v8, v4
	v_add_co_u32 v28, null, 0x78dde6e4, v10
	v_add_co_u32 v29, null, 0xed9eba14, v16
	s_delay_alu instid0(VALU_DEP_3) | instskip(SKIP_3) | instid1(VALU_DEP_3)
	v_mad_u64_u32 v[3:4], null, 0xcd9e8d57, v0, 0
	v_xor3_b32 v8, v20, v15, v6
	v_add_co_u32 v31, null, 0xa9066899, v16
	v_add_co_u32 v32, null, 0x1715609d, v10
	v_mad_u64_u32 v[5:6], null, 0xd2511f53, v8, 0
	v_xor3_b32 v0, v21, v4, v14
	v_add_co_u32 v33, null, 0xb54cda56, v10
	v_add_co_u32 v35, null, 0x646e171e, v16
	s_load_b256 s[4:11], s[0:1], 0x30
	s_delay_alu instid0(VALU_DEP_4) | instskip(SKIP_2) | instid1(VALU_DEP_3)
	v_xor3_b32 v4, v22, v6, v7
	v_mad_u64_u32 v[6:7], null, 0xd2511f53, v0, 0
	v_add_co_u32 v30, null, 0x5384540f, v10
	v_mad_u64_u32 v[8:9], null, 0xcd9e8d57, v4, 0
	v_add_co_u32 v36, null, 0x1fd5c5a3, v16
	s_delay_alu instid0(VALU_DEP_4) | instskip(SKIP_3) | instid1(VALU_DEP_4)
	v_xor3_b32 v0, v23, v7, v5
	v_add_co_u32 v34, null, 0xf1bbcdc8, v10
	v_add_co_u32 v37, null, 0xdb3d7428, v16
	v_xor3_b32 v7, v24, v9, v3
	v_mad_u64_u32 v[2:3], null, 0xcd9e8d57, v0, 0
	s_add_u32 s20, s0, 48
	s_addc_u32 s21, s1, 0
	s_delay_alu instid0(VALU_DEP_2)
	v_mad_u64_u32 v[4:5], null, 0xd2511f53, v7, 0
	s_waitcnt lgkmcnt(0)
	s_add_i32 s2, s4, -1
	s_clause 0x1
	s_load_b64 s[22:23], s[0:1], 0xf4
	s_load_b128 s[12:15], s[0:1], 0x138
	v_xor3_b32 v0, v28, v3, v8
	s_cmp_lt_u32 s2, 2
	v_add_nc_u32_e32 v26, 0x8ff34781, v10
	s_cselect_b32 s11, -1, 0
	v_xor3_b32 v3, v29, v5, v6
	v_mad_u64_u32 v[5:6], null, 0xd2511f53, v0, 0
	s_cmp_lg_u32 s4, 0
	v_dual_mov_b32 v38, v12 :: v_dual_add_nc_u32 v27, 0x96a522ad, v11
	s_delay_alu instid0(VALU_DEP_3) | instskip(SKIP_1) | instid1(VALU_DEP_3)
	v_mad_u64_u32 v[7:8], null, 0xcd9e8d57, v3, 0
	s_cselect_b32 s29, -1, 0
	v_xor3_b32 v0, v31, v6, v4
	s_add_u32 s24, s0, 0xf4
	s_addc_u32 s25, s1, 0
	s_min_u32 s0, s2, 15
	s_cmp_gt_u32 s4, 1
	s_delay_alu instid0(VALU_DEP_2) | instskip(SKIP_3) | instid1(VALU_DEP_2)
	v_xor3_b32 v4, v32, v8, v2
	v_mad_u64_u32 v[2:3], null, 0xcd9e8d57, v0, 0
	s_cselect_b32 s4, -1, 0
	s_add_i32 s0, s0, 1
	v_mad_u64_u32 v[8:9], null, 0xd2511f53, v4, 0
	s_and_b32 s30, s0, 3
	s_cmp_lg_u32 s2, 2
	s_delay_alu instid0(VALU_DEP_2) | instskip(SKIP_3) | instid1(VALU_DEP_2)
	v_xor3_b32 v0, v33, v3, v7
	s_cselect_b32 s31, -1, 0
	s_and_b32 s33, s0, 28
	s_cmp_lg_u32 s30, 0
	v_xor3_b32 v7, v35, v9, v5
	v_mad_u64_u32 v[3:4], null, 0xd2511f53, v0, 0
	s_mov_b32 s28, 0
	s_cselect_b32 s34, -1, 0
	s_delay_alu instid0(VALU_DEP_2) | instskip(SKIP_2) | instid1(VALU_DEP_2)
	v_mad_u64_u32 v[5:6], null, 0xcd9e8d57, v7, 0
	s_mov_b32 s35, 0x7fffff
	s_mov_b32 s36, 0xbc8cedd3
	v_xor3_b32 v0, v36, v4, v8
	s_mov_b32 s37, 0x3c971480
	s_delay_alu instid0(VALU_DEP_2) | instskip(NEXT) | instid1(VALU_DEP_2)
	v_xor3_b32 v2, v30, v6, v2
	v_mad_u64_u32 v[14:15], null, 0xcd9e8d57, v0, 0
	s_delay_alu instid0(VALU_DEP_2) | instskip(NEXT) | instid1(VALU_DEP_2)
	v_mad_u64_u32 v[39:40], null, 0xd2511f53, v2, 0
	v_xor3_b32 v0, v34, v15, v5
	s_delay_alu instid0(VALU_DEP_2) | instskip(NEXT) | instid1(VALU_DEP_2)
	v_xor3_b32 v4, v37, v40, v3
	v_mad_u64_u32 v[2:3], null, 0xd2511f53, v0, 0
	s_delay_alu instid0(VALU_DEP_2) | instskip(NEXT) | instid1(VALU_DEP_2)
	v_mad_u64_u32 v[6:7], null, 0xcd9e8d57, v4, 0
	v_mov_b32_e32 v8, v2
	s_delay_alu instid0(VALU_DEP_2) | instskip(NEXT) | instid1(VALU_DEP_4)
	v_xor3_b32 v5, v7, v14, v26
	v_xor3_b32 v7, v3, v39, v27
	v_mov_b32_e32 v39, v13
	s_branch .LBB9_9
.LBB9_7:                                ;   in Loop: Header=BB9_9 Depth=1
	s_or_b32 exec_lo, exec_lo, s0
	s_delay_alu instid0(VALU_DEP_2) | instskip(NEXT) | instid1(VALU_DEP_1)
	v_mul_f32_e32 v9, v0, v0
	v_dual_fmaak_f32 v15, s37, v9, 0xbf039337 :: v_dual_and_b32 v8, 1, v8
	v_fmaak_f32 v16, s36, v9, 0x3ec54587
	s_delay_alu instid0(VALU_DEP_2) | instskip(NEXT) | instid1(VALU_DEP_3)
	v_cmp_eq_u32_e32 vcc_lo, 0, v8
	v_fmaak_f32 v15, v9, v15, 0x3f93f425
	s_delay_alu instid0(VALU_DEP_1) | instskip(SKIP_2) | instid1(VALU_DEP_1)
	v_rcp_f32_e32 v15, v15
	s_waitcnt_depctr 0xfff
	v_mul_f32_e32 v15, v16, v15
	v_mul_f32_e32 v9, v9, v15
	s_delay_alu instid0(VALU_DEP_1) | instskip(NEXT) | instid1(VALU_DEP_1)
	v_fma_f32 v15, v9, v0, v0
	v_rcp_f32_e32 v16, v15
	v_sub_f32_e32 v40, v15, v0
	s_delay_alu instid0(VALU_DEP_1) | instskip(SKIP_2) | instid1(VALU_DEP_1)
	v_fma_f32 v0, v9, v0, -v40
	s_waitcnt_depctr 0xfff
	v_fma_f32 v9, v15, -v16, 1.0
	v_fma_f32 v0, v0, -v16, v9
	s_delay_alu instid0(VALU_DEP_1) | instskip(NEXT) | instid1(VALU_DEP_1)
	v_fma_f32 v0, v0, -v16, -v16
	v_cndmask_b32_e32 v0, v0, v15, vcc_lo
	v_cmp_class_f32_e64 vcc_lo, v6, 0x1f8
	s_delay_alu instid0(VALU_DEP_2) | instskip(NEXT) | instid1(VALU_DEP_1)
	v_xor3_b32 v0, v7, v6, v0
	v_cndmask_b32_e32 v0, 0x7fc00000, v0, vcc_lo
	s_waitcnt lgkmcnt(0)
	s_delay_alu instid0(VALU_DEP_1)
	v_fma_mixlo_f16 v0, s15, v0, s14
	global_store_b16 v5, v0, s[12:13]
.LBB9_8:                                ;   in Loop: Header=BB9_9 Depth=1
	s_or_b32 exec_lo, exec_lo, s38
	v_add_co_u32 v12, vcc_lo, v12, s27
	v_add_co_ci_u32_e32 v13, vcc_lo, 0, v13, vcc_lo
	v_mov_b32_e32 v5, v14
	s_waitcnt lgkmcnt(0)
	s_waitcnt_vscnt null, 0x0
	s_barrier
	v_cmp_le_i64_e32 vcc_lo, s[18:19], v[12:13]
	buffer_gl0_inv
	v_mov_b32_e32 v8, v5
	v_dual_mov_b32 v7, v4 :: v_dual_mov_b32 v6, v3
	v_mov_b32_e32 v5, v2
	s_or_b32 s28, vcc_lo, s28
	s_delay_alu instid0(SALU_CYCLE_1)
	s_and_not1_b32 exec_lo, exec_lo, s28
	s_cbranch_execz .LBB9_56
.LBB9_9:                                ; =>This Loop Header: Depth=1
                                        ;     Child Loop BB9_28 Depth 2
                                        ;     Child Loop BB9_32 Depth 2
	;; [unrolled: 1-line block ×4, first 2 shown]
	v_add_co_u32 v17, vcc_lo, v17, 1
	s_delay_alu instid0(VALU_DEP_1) | instskip(SKIP_1) | instid1(VALU_DEP_3)
	v_cndmask_b32_e64 v0, 0, 1, vcc_lo
	v_add_co_ci_u32_e32 v18, vcc_lo, 0, v18, vcc_lo
	v_mad_u64_u32 v[2:3], null, 0xd2511f53, v17, 0
	s_mov_b32 s0, exec_lo
	s_delay_alu instid0(VALU_DEP_2) | instskip(SKIP_1) | instid1(VALU_DEP_1)
	v_cmp_eq_u32_e32 vcc_lo, 0, v18
	v_cndmask_b32_e32 v0, 0, v0, vcc_lo
	v_add_nc_u32_e32 v38, v0, v38
	s_delay_alu instid0(VALU_DEP_1) | instskip(SKIP_2) | instid1(VALU_DEP_2)
	v_cmp_eq_u32_e32 vcc_lo, 0, v38
	v_mad_u64_u32 v[14:15], null, 0xcd9e8d57, v38, 0
	v_cndmask_b32_e32 v0, 0, v0, vcc_lo
	v_xor3_b32 v9, v15, v10, v18
	s_delay_alu instid0(VALU_DEP_2) | instskip(SKIP_1) | instid1(VALU_DEP_3)
	v_add_nc_u32_e32 v39, v0, v39
	v_xor_b32_e32 v0, v3, v11
	v_mad_u64_u32 v[3:4], null, 0xd2511f53, v9, 0
	s_delay_alu instid0(VALU_DEP_2) | instskip(NEXT) | instid1(VALU_DEP_1)
	v_xor_b32_e32 v0, v39, v0
	v_mad_u64_u32 v[15:16], null, 0xcd9e8d57, v0, 0
	s_delay_alu instid0(VALU_DEP_3) | instskip(NEXT) | instid1(VALU_DEP_1)
	v_xor3_b32 v0, v19, v4, v2
	v_mad_u64_u32 v[40:41], null, 0xcd9e8d57, v0, 0
	s_delay_alu instid0(VALU_DEP_3) | instskip(NEXT) | instid1(VALU_DEP_1)
	v_xor3_b32 v2, v20, v16, v14
	v_mad_u64_u32 v[42:43], null, 0xd2511f53, v2, 0
	s_delay_alu instid0(VALU_DEP_3) | instskip(NEXT) | instid1(VALU_DEP_2)
	v_xor3_b32 v0, v21, v41, v15
	v_xor3_b32 v4, v22, v43, v3
	s_delay_alu instid0(VALU_DEP_2) | instskip(NEXT) | instid1(VALU_DEP_2)
	v_mad_u64_u32 v[2:3], null, 0xd2511f53, v0, 0
	v_mad_u64_u32 v[14:15], null, 0xcd9e8d57, v4, 0
	s_delay_alu instid0(VALU_DEP_2) | instskip(NEXT) | instid1(VALU_DEP_2)
	v_xor3_b32 v0, v23, v3, v42
	v_xor3_b32 v9, v24, v15, v40
	s_delay_alu instid0(VALU_DEP_2) | instskip(NEXT) | instid1(VALU_DEP_2)
	v_mad_u64_u32 v[3:4], null, 0xcd9e8d57, v0, 0
	v_mad_u64_u32 v[15:16], null, 0xd2511f53, v9, 0
	s_delay_alu instid0(VALU_DEP_2) | instskip(NEXT) | instid1(VALU_DEP_2)
	;; [unrolled: 6-line block ×7, first 2 shown]
	v_xor3_b32 v9, v15, v42, v27
	v_xor3_b32 v2, v4, v40, v26
	s_delay_alu instid0(VALU_DEP_2)
	v_mov_b32_e32 v4, v9
	v_cmpx_lt_i32_e32 1, v25
	s_xor_b32 s0, exec_lo, s0
	s_cbranch_execnz .LBB9_12
; %bb.10:                               ;   in Loop: Header=BB9_9 Depth=1
	s_and_not1_saveexec_b32 s0, s0
	s_cbranch_execnz .LBB9_17
.LBB9_11:                               ;   in Loop: Header=BB9_9 Depth=1
	s_or_b32 exec_lo, exec_lo, s0
	s_delay_alu instid0(SALU_CYCLE_1)
	s_mov_b32 s38, exec_lo
	v_cmpx_gt_i64_e64 s[16:17], v[12:13]
	s_cbranch_execnz .LBB9_20
	s_branch .LBB9_38
.LBB9_12:                               ;   in Loop: Header=BB9_9 Depth=1
	s_mov_b32 s1, exec_lo
	v_cmpx_lt_i32_e32 2, v25
	s_xor_b32 s1, exec_lo, s1
; %bb.13:                               ;   in Loop: Header=BB9_9 Depth=1
	v_dual_mov_b32 v6, v8 :: v_dual_mov_b32 v7, v2
	v_mov_b32_e32 v8, v3
	s_delay_alu instid0(VALU_DEP_2) | instskip(NEXT) | instid1(VALU_DEP_3)
	v_mov_b32_e32 v5, v6
	v_mov_b32_e32 v6, v7
	s_delay_alu instid0(VALU_DEP_3)
	v_mov_b32_e32 v7, v8
	v_mov_b32_e32 v8, v9
; %bb.14:                               ;   in Loop: Header=BB9_9 Depth=1
	s_and_not1_saveexec_b32 s1, s1
; %bb.15:                               ;   in Loop: Header=BB9_9 Depth=1
	s_delay_alu instid0(VALU_DEP_1)
	v_dual_mov_b32 v5, v7 :: v_dual_mov_b32 v6, v8
	v_dual_mov_b32 v7, v2 :: v_dual_mov_b32 v8, v3
; %bb.16:                               ;   in Loop: Header=BB9_9 Depth=1
	s_or_b32 exec_lo, exec_lo, s1
	s_and_not1_saveexec_b32 s0, s0
	s_cbranch_execz .LBB9_11
.LBB9_17:                               ;   in Loop: Header=BB9_9 Depth=1
	s_mov_b32 s1, exec_lo
	v_cmpx_eq_u32_e32 1, v25
; %bb.18:                               ;   in Loop: Header=BB9_9 Depth=1
	v_dual_mov_b32 v5, v6 :: v_dual_mov_b32 v6, v7
	v_dual_mov_b32 v7, v8 :: v_dual_mov_b32 v8, v2
; %bb.19:                               ;   in Loop: Header=BB9_9 Depth=1
	s_or_b32 exec_lo, exec_lo, s1
	s_delay_alu instid0(SALU_CYCLE_1) | instskip(NEXT) | instid1(SALU_CYCLE_1)
	s_or_b32 exec_lo, exec_lo, s0
	s_mov_b32 s38, exec_lo
	v_cmpx_gt_i64_e64 s[16:17], v[12:13]
	s_cbranch_execz .LBB9_38
.LBB9_20:                               ;   in Loop: Header=BB9_9 Depth=1
	s_and_b32 vcc_lo, exec_lo, s11
	s_cbranch_vccz .LBB9_24
; %bb.21:                               ;   in Loop: Header=BB9_9 Depth=1
	v_mul_hi_u32 v0, v12, s6
	s_and_not1_b32 vcc_lo, exec_lo, s4
	s_delay_alu instid0(VALU_DEP_1) | instskip(NEXT) | instid1(VALU_DEP_1)
	v_add_nc_u32_e32 v0, v0, v12
	v_lshrrev_b32_e32 v0, s7, v0
	s_delay_alu instid0(VALU_DEP_1) | instskip(NEXT) | instid1(VALU_DEP_1)
	v_mul_lo_u32 v9, v0, s5
	v_sub_nc_u32_e32 v9, v12, v9
	s_waitcnt lgkmcnt(0)
	s_delay_alu instid0(VALU_DEP_1)
	v_mul_lo_u32 v9, v9, s22
	s_cbranch_vccnz .LBB9_23
; %bb.22:                               ;   in Loop: Header=BB9_9 Depth=1
	v_mul_hi_u32 v15, s9, v0
	s_delay_alu instid0(VALU_DEP_1) | instskip(NEXT) | instid1(VALU_DEP_1)
	v_add_nc_u32_e32 v15, v0, v15
	v_lshrrev_b32_e32 v15, s10, v15
	s_delay_alu instid0(VALU_DEP_1) | instskip(NEXT) | instid1(VALU_DEP_1)
	v_mul_lo_u32 v15, v15, s8
	v_sub_nc_u32_e32 v0, v0, v15
	s_delay_alu instid0(VALU_DEP_1) | instskip(NEXT) | instid1(VALU_DEP_1)
	v_mad_u64_u32 v[15:16], null, v0, s23, v[9:10]
	v_mov_b32_e32 v9, v15
.LBB9_23:                               ;   in Loop: Header=BB9_9 Depth=1
	s_cbranch_execz .LBB9_25
	s_branch .LBB9_33
.LBB9_24:                               ;   in Loop: Header=BB9_9 Depth=1
                                        ; implicit-def: $vgpr9
.LBB9_25:                               ;   in Loop: Header=BB9_9 Depth=1
	v_mov_b32_e32 v9, 0
	s_and_not1_b32 vcc_lo, exec_lo, s29
	s_cbranch_vccnz .LBB9_33
; %bb.26:                               ;   in Loop: Header=BB9_9 Depth=1
	s_and_not1_b32 vcc_lo, exec_lo, s31
	s_mov_b32 s0, 0
	s_cbranch_vccnz .LBB9_30
; %bb.27:                               ;   in Loop: Header=BB9_9 Depth=1
	v_dual_mov_b32 v9, 0 :: v_dual_mov_b32 v0, v12
	s_mov_b32 s39, 0
	s_mov_b64 s[0:1], s[20:21]
	s_mov_b64 s[2:3], s[24:25]
.LBB9_28:                               ;   Parent Loop BB9_9 Depth=1
                                        ; =>  This Inner Loop Header: Depth=2
	s_clause 0x1
	s_load_b256 s[40:47], s[0:1], 0x4
	s_load_b128 s[48:51], s[0:1], 0x24
	s_load_b128 s[52:55], s[2:3], 0x0
	s_add_u32 s0, s0, 48
	s_addc_u32 s1, s1, 0
	s_add_i32 s39, s39, 4
	s_add_u32 s2, s2, 16
	s_addc_u32 s3, s3, 0
	s_cmp_lg_u32 s33, s39
	s_waitcnt lgkmcnt(0)
	v_mul_hi_u32 v15, s41, v0
	s_delay_alu instid0(VALU_DEP_1) | instskip(NEXT) | instid1(VALU_DEP_1)
	v_add_nc_u32_e32 v15, v0, v15
	v_lshrrev_b32_e32 v15, s42, v15
	s_delay_alu instid0(VALU_DEP_1) | instskip(SKIP_1) | instid1(VALU_DEP_2)
	v_mul_hi_u32 v16, s44, v15
	v_mul_lo_u32 v42, v15, s40
	v_add_nc_u32_e32 v16, v15, v16
	s_delay_alu instid0(VALU_DEP_2) | instskip(NEXT) | instid1(VALU_DEP_2)
	v_sub_nc_u32_e32 v42, v0, v42
	v_lshrrev_b32_e32 v16, s45, v16
	s_delay_alu instid0(VALU_DEP_2) | instskip(NEXT) | instid1(VALU_DEP_2)
	v_mul_lo_u32 v42, v42, s52
	v_mul_hi_u32 v40, s47, v16
	v_mul_lo_u32 v43, v16, s43
	s_delay_alu instid0(VALU_DEP_2) | instskip(NEXT) | instid1(VALU_DEP_2)
	v_add_nc_u32_e32 v40, v16, v40
	v_sub_nc_u32_e32 v15, v15, v43
	s_delay_alu instid0(VALU_DEP_2) | instskip(NEXT) | instid1(VALU_DEP_2)
	v_lshrrev_b32_e32 v40, s48, v40
	v_mul_lo_u32 v15, v15, s53
	s_delay_alu instid0(VALU_DEP_2) | instskip(NEXT) | instid1(VALU_DEP_2)
	v_mul_hi_u32 v41, s50, v40
	v_add3_u32 v9, v42, v9, v15
	s_delay_alu instid0(VALU_DEP_2) | instskip(NEXT) | instid1(VALU_DEP_1)
	v_add_nc_u32_e32 v41, v40, v41
	v_lshrrev_b32_e32 v0, s51, v41
	v_mul_lo_u32 v41, v40, s46
	s_delay_alu instid0(VALU_DEP_2) | instskip(NEXT) | instid1(VALU_DEP_2)
	v_mul_lo_u32 v44, v0, s49
	v_sub_nc_u32_e32 v16, v16, v41
	s_delay_alu instid0(VALU_DEP_2) | instskip(NEXT) | instid1(VALU_DEP_2)
	v_sub_nc_u32_e32 v40, v40, v44
	v_mul_lo_u32 v16, v16, s54
	s_delay_alu instid0(VALU_DEP_2) | instskip(NEXT) | instid1(VALU_DEP_1)
	v_mul_lo_u32 v40, v40, s55
	v_add3_u32 v9, v16, v9, v40
	s_cbranch_scc1 .LBB9_28
; %bb.29:                               ;   in Loop: Header=BB9_9 Depth=1
	s_mov_b32 s0, s33
	s_and_not1_b32 vcc_lo, exec_lo, s34
	s_cbranch_vccz .LBB9_31
	s_branch .LBB9_33
.LBB9_30:                               ;   in Loop: Header=BB9_9 Depth=1
	v_mov_b32_e32 v0, v12
	s_and_not1_b32 vcc_lo, exec_lo, s34
	s_cbranch_vccnz .LBB9_33
.LBB9_31:                               ;   in Loop: Header=BB9_9 Depth=1
	s_lshl_b32 s1, s0, 2
	s_mul_i32 s2, s0, 12
	s_add_u32 s0, s24, s1
	s_addc_u32 s1, s25, 0
	s_add_u32 s2, s20, s2
	s_addc_u32 s3, s21, 0
	s_mov_b32 s39, s30
	.p2align	6
.LBB9_32:                               ;   Parent Loop BB9_9 Depth=1
                                        ; =>  This Inner Loop Header: Depth=2
	s_clause 0x1
	s_load_b64 s[40:41], s[2:3], 0x4
	s_load_b32 s42, s[2:3], 0xc
	s_add_u32 s2, s2, 12
	s_addc_u32 s3, s3, 0
	s_waitcnt lgkmcnt(0)
	v_mul_hi_u32 v15, s41, v0
	s_load_b32 s41, s[0:1], 0x0
	s_add_u32 s0, s0, 4
	s_addc_u32 s1, s1, 0
	s_add_i32 s39, s39, -1
	s_delay_alu instid0(SALU_CYCLE_1) | instskip(NEXT) | instid1(VALU_DEP_1)
	s_cmp_eq_u32 s39, 0
	v_add_nc_u32_e32 v15, v0, v15
	s_delay_alu instid0(VALU_DEP_1) | instskip(NEXT) | instid1(VALU_DEP_1)
	v_lshrrev_b32_e32 v40, s42, v15
	v_mul_lo_u32 v15, v40, s40
	s_delay_alu instid0(VALU_DEP_1) | instskip(SKIP_1) | instid1(VALU_DEP_1)
	v_sub_nc_u32_e32 v0, v0, v15
	s_waitcnt lgkmcnt(0)
	v_mad_u64_u32 v[15:16], null, v0, s41, v[9:10]
	s_delay_alu instid0(VALU_DEP_1)
	v_dual_mov_b32 v0, v40 :: v_dual_mov_b32 v9, v15
	s_cbranch_scc0 .LBB9_32
.LBB9_33:                               ;   in Loop: Header=BB9_9 Depth=1
	v_lshrrev_b32_e32 v0, 11, v6
	v_cvt_f64_u32_e32 v[5:6], v5
	s_mov_b32 s1, exec_lo
	s_delay_alu instid0(VALU_DEP_2) | instskip(NEXT) | instid1(VALU_DEP_1)
	v_cvt_f64_u32_e32 v[15:16], v0
	v_ldexp_f64 v[15:16], v[15:16], 32
	s_delay_alu instid0(VALU_DEP_1) | instskip(NEXT) | instid1(VALU_DEP_1)
	v_add_f64 v[5:6], v[15:16], v[5:6]
                                        ; implicit-def: $vgpr15
	v_fma_f64 v[5:6], 0x3ca00000, v[5:6], 0x3ca00000
	s_delay_alu instid0(VALU_DEP_1) | instskip(NEXT) | instid1(VALU_DEP_1)
	v_cvt_f32_f64_e32 v0, v[5:6]
	v_cmp_nlt_f32_e32 vcc_lo, 0x3f7ffffe, v0
	v_cndmask_b32_e32 v0, 0x3f7ffffe, v0, vcc_lo
	s_delay_alu instid0(VALU_DEP_1) | instskip(SKIP_1) | instid1(VALU_DEP_1)
	v_cmp_ngt_f32_e32 vcc_lo, 0x34000000, v0
	v_cndmask_b32_e32 v0, 0x34000000, v0, vcc_lo
	v_add_f32_e32 v0, -0.5, v0
	s_delay_alu instid0(VALU_DEP_1) | instskip(NEXT) | instid1(VALU_DEP_1)
	v_mul_f32_e32 v5, 0x40490fdb, v0
                                        ; implicit-def: $vgpr0
	v_and_b32_e32 v6, 0x7fffffff, v5
	v_cmpx_ngt_f32_e64 0x48000000, |v5|
	s_xor_b32 s3, exec_lo, s1
	s_cbranch_execz .LBB9_35
; %bb.34:                               ;   in Loop: Header=BB9_9 Depth=1
	s_delay_alu instid0(VALU_DEP_2) | instskip(NEXT) | instid1(VALU_DEP_1)
	v_and_or_b32 v47, v6, s35, 0x800000
	v_mad_u64_u32 v[15:16], null, 0xfe5163ab, v47, 0
	s_delay_alu instid0(VALU_DEP_1) | instskip(SKIP_1) | instid1(VALU_DEP_2)
	v_mov_b32_e32 v0, v16
	v_lshrrev_b32_e32 v16, 23, v6
	v_mad_u64_u32 v[40:41], null, 0x3c439041, v47, v[0:1]
	s_delay_alu instid0(VALU_DEP_2) | instskip(NEXT) | instid1(VALU_DEP_1)
	v_add_nc_u32_e32 v16, 0xffffff88, v16
	v_cmp_lt_u32_e32 vcc_lo, 63, v16
	s_delay_alu instid0(VALU_DEP_3) | instskip(SKIP_1) | instid1(VALU_DEP_2)
	v_mov_b32_e32 v0, v41
	v_cndmask_b32_e64 v45, 0, 0xffffffc0, vcc_lo
	v_mad_u64_u32 v[41:42], null, 0xdb629599, v47, v[0:1]
	s_delay_alu instid0(VALU_DEP_2) | instskip(NEXT) | instid1(VALU_DEP_2)
	v_add_nc_u32_e32 v16, v45, v16
	v_mov_b32_e32 v0, v42
	s_delay_alu instid0(VALU_DEP_2) | instskip(NEXT) | instid1(VALU_DEP_4)
	v_cmp_lt_u32_e64 s0, 31, v16
	v_cndmask_b32_e32 v15, v41, v15, vcc_lo
	s_delay_alu instid0(VALU_DEP_3) | instskip(NEXT) | instid1(VALU_DEP_3)
	v_mad_u64_u32 v[42:43], null, 0xf534ddc0, v47, v[0:1]
	v_cndmask_b32_e64 v46, 0, 0xffffffe0, s0
	s_delay_alu instid0(VALU_DEP_1) | instskip(NEXT) | instid1(VALU_DEP_3)
	v_add_nc_u32_e32 v16, v46, v16
	v_mov_b32_e32 v0, v43
	s_delay_alu instid0(VALU_DEP_2) | instskip(NEXT) | instid1(VALU_DEP_2)
	v_cmp_lt_u32_e64 s1, 31, v16
	v_mad_u64_u32 v[43:44], null, 0xfc2757d1, v47, v[0:1]
	s_delay_alu instid0(VALU_DEP_1) | instskip(NEXT) | instid1(VALU_DEP_1)
	v_mov_b32_e32 v0, v44
	v_mad_u64_u32 v[44:45], null, 0x4e441529, v47, v[0:1]
	s_delay_alu instid0(VALU_DEP_1) | instskip(NEXT) | instid1(VALU_DEP_1)
	v_mov_b32_e32 v0, v45
	v_mad_u64_u32 v[45:46], null, 0xa2f9836e, v47, v[0:1]
	v_cndmask_b32_e64 v0, 0, 0xffffffe0, s1
	s_delay_alu instid0(VALU_DEP_4) | instskip(NEXT) | instid1(VALU_DEP_2)
	v_cndmask_b32_e32 v47, v44, v42, vcc_lo
	v_dual_cndmask_b32 v45, v45, v43 :: v_dual_add_nc_u32 v0, v0, v16
	s_delay_alu instid0(VALU_DEP_4) | instskip(SKIP_1) | instid1(VALU_DEP_3)
	v_dual_cndmask_b32 v44, v46, v44 :: v_dual_cndmask_b32 v43, v43, v41
	v_cndmask_b32_e32 v16, v42, v40, vcc_lo
	v_cmp_eq_u32_e64 s2, 0, v0
	s_delay_alu instid0(VALU_DEP_4) | instskip(NEXT) | instid1(VALU_DEP_4)
	v_cndmask_b32_e64 v40, v45, v47, s0
	v_cndmask_b32_e64 v42, v44, v45, s0
	;; [unrolled: 1-line block ×3, first 2 shown]
	v_sub_nc_u32_e32 v45, 32, v0
	v_cndmask_b32_e64 v43, v43, v16, s0
	v_cndmask_b32_e64 v15, v16, v15, s0
	;; [unrolled: 1-line block ×4, first 2 shown]
	s_delay_alu instid0(VALU_DEP_4) | instskip(NEXT) | instid1(VALU_DEP_4)
	v_cndmask_b32_e64 v44, v44, v43, s1
	v_cndmask_b32_e64 v15, v43, v15, s1
	s_delay_alu instid0(VALU_DEP_3) | instskip(NEXT) | instid1(VALU_DEP_3)
	v_alignbit_b32 v46, v42, v40, v45
	v_alignbit_b32 v47, v40, v44, v45
	s_delay_alu instid0(VALU_DEP_3) | instskip(NEXT) | instid1(VALU_DEP_3)
	v_alignbit_b32 v45, v44, v15, v45
	v_cndmask_b32_e64 v0, v46, v42, s2
	s_delay_alu instid0(VALU_DEP_3) | instskip(NEXT) | instid1(VALU_DEP_3)
	v_cndmask_b32_e64 v40, v47, v40, s2
	v_cndmask_b32_e64 v44, v45, v44, s2
	s_delay_alu instid0(VALU_DEP_3) | instskip(NEXT) | instid1(VALU_DEP_3)
	v_bfe_u32 v41, v0, 29, 1
	v_alignbit_b32 v16, v0, v40, 30
	s_delay_alu instid0(VALU_DEP_3) | instskip(SKIP_1) | instid1(VALU_DEP_4)
	v_alignbit_b32 v40, v40, v44, 30
	v_alignbit_b32 v15, v44, v15, 30
	v_sub_nc_u32_e32 v42, 0, v41
	s_delay_alu instid0(VALU_DEP_1) | instskip(SKIP_3) | instid1(VALU_DEP_4)
	v_xor_b32_e32 v43, v16, v42
	v_cmp_ne_u32_e32 vcc_lo, v16, v42
	v_xor_b32_e32 v40, v40, v42
	v_xor_b32_e32 v15, v15, v42
	v_clz_i32_u32_e32 v46, v43
	s_delay_alu instid0(VALU_DEP_1) | instskip(NEXT) | instid1(VALU_DEP_1)
	v_add_nc_u32_e32 v45, 1, v46
	v_cndmask_b32_e32 v16, 33, v45, vcc_lo
	s_delay_alu instid0(VALU_DEP_1) | instskip(NEXT) | instid1(VALU_DEP_1)
	v_sub_nc_u32_e32 v44, 32, v16
	v_alignbit_b32 v42, v43, v40, v44
	v_alignbit_b32 v15, v40, v15, v44
	v_lshrrev_b32_e32 v40, 29, v0
	s_delay_alu instid0(VALU_DEP_2) | instskip(NEXT) | instid1(VALU_DEP_2)
	v_alignbit_b32 v43, v42, v15, 9
	v_lshlrev_b32_e32 v40, 31, v40
	v_alignbit_b32 v42, v16, v42, 9
	s_delay_alu instid0(VALU_DEP_3) | instskip(NEXT) | instid1(VALU_DEP_2)
	v_clz_i32_u32_e32 v44, v43
	v_or_b32_e32 v42, v42, v40
	v_or_b32_e32 v40, 0x33800000, v40
	s_delay_alu instid0(VALU_DEP_3) | instskip(NEXT) | instid1(VALU_DEP_3)
	v_min_u32_e32 v44, 32, v44
	v_xor_b32_e32 v42, 1.0, v42
	s_delay_alu instid0(VALU_DEP_2) | instskip(SKIP_1) | instid1(VALU_DEP_3)
	v_sub_nc_u32_e32 v45, 31, v44
	v_add_lshl_u32 v16, v44, v16, 23
	v_mul_f32_e32 v44, 0x3fc90fda, v42
	s_delay_alu instid0(VALU_DEP_3) | instskip(NEXT) | instid1(VALU_DEP_3)
	v_alignbit_b32 v15, v43, v15, v45
	v_sub_nc_u32_e32 v16, v40, v16
	s_delay_alu instid0(VALU_DEP_3) | instskip(NEXT) | instid1(VALU_DEP_3)
	v_fma_f32 v40, 0x3fc90fda, v42, -v44
	v_lshrrev_b32_e32 v15, 9, v15
	s_delay_alu instid0(VALU_DEP_2) | instskip(NEXT) | instid1(VALU_DEP_2)
	v_fmac_f32_e32 v40, 0x33a22168, v42
	v_or_b32_e32 v15, v16, v15
	s_delay_alu instid0(VALU_DEP_1) | instskip(SKIP_1) | instid1(VALU_DEP_1)
	v_fmac_f32_e32 v40, 0x3fc90fda, v15
	v_lshrrev_b32_e32 v15, 30, v0
	v_dual_add_f32 v0, v44, v40 :: v_dual_add_nc_u32 v15, v41, v15
.LBB9_35:                               ;   in Loop: Header=BB9_9 Depth=1
	s_and_not1_saveexec_b32 s0, s3
; %bb.36:                               ;   in Loop: Header=BB9_9 Depth=1
	v_mul_f32_e64 v0, 0x3f22f983, |v5|
	s_delay_alu instid0(VALU_DEP_1) | instskip(NEXT) | instid1(VALU_DEP_1)
	v_rndne_f32_e32 v15, v0
	v_fma_f32 v0, 0xbfc90fda, v15, |v5|
	s_delay_alu instid0(VALU_DEP_1) | instskip(NEXT) | instid1(VALU_DEP_1)
	v_fmac_f32_e32 v0, 0xb3a22168, v15
	v_fmac_f32_e32 v0, 0xa7c234c4, v15
	v_cvt_i32_f32_e32 v15, v15
; %bb.37:                               ;   in Loop: Header=BB9_9 Depth=1
	s_or_b32 exec_lo, exec_lo, s0
	s_delay_alu instid0(VALU_DEP_1) | instskip(NEXT) | instid1(VALU_DEP_1)
	v_dual_mul_f32 v16, v0, v0 :: v_dual_and_b32 v15, 1, v15
	v_fmaak_f32 v40, s37, v16, 0xbf039337
	v_fmaak_f32 v41, s36, v16, 0x3ec54587
	s_delay_alu instid0(VALU_DEP_3) | instskip(NEXT) | instid1(VALU_DEP_3)
	v_cmp_eq_u32_e32 vcc_lo, 0, v15
	v_fmaak_f32 v40, v16, v40, 0x3f93f425
	s_delay_alu instid0(VALU_DEP_1) | instskip(SKIP_2) | instid1(VALU_DEP_1)
	v_rcp_f32_e32 v40, v40
	s_waitcnt_depctr 0xfff
	v_mul_f32_e32 v40, v41, v40
	v_mul_f32_e32 v16, v16, v40
	s_delay_alu instid0(VALU_DEP_1) | instskip(NEXT) | instid1(VALU_DEP_1)
	v_fma_f32 v40, v16, v0, v0
	v_rcp_f32_e32 v41, v40
	v_sub_f32_e32 v42, v40, v0
	s_delay_alu instid0(VALU_DEP_1) | instskip(SKIP_2) | instid1(VALU_DEP_1)
	v_fma_f32 v0, v16, v0, -v42
	s_waitcnt_depctr 0xfff
	v_fma_f32 v16, v40, -v41, 1.0
	v_fma_f32 v0, v0, -v41, v16
	s_delay_alu instid0(VALU_DEP_1) | instskip(NEXT) | instid1(VALU_DEP_1)
	v_fma_f32 v0, v0, -v41, -v41
	v_cndmask_b32_e32 v0, v0, v40, vcc_lo
	v_cmp_class_f32_e64 vcc_lo, v5, 0x1f8
	s_delay_alu instid0(VALU_DEP_2) | instskip(NEXT) | instid1(VALU_DEP_1)
	v_xor3_b32 v0, v6, v5, v0
	v_cndmask_b32_e32 v0, 0x7fc00000, v0, vcc_lo
	s_waitcnt lgkmcnt(0)
	s_delay_alu instid0(VALU_DEP_1)
	v_fma_mixlo_f16 v0, s15, v0, s14
	global_store_b16 v9, v0, s[12:13]
.LBB9_38:                               ;   in Loop: Header=BB9_9 Depth=1
	s_or_b32 exec_lo, exec_lo, s38
	v_add_co_u32 v15, vcc_lo, v12, s26
	v_add_co_ci_u32_e32 v16, vcc_lo, 0, v13, vcc_lo
	s_mov_b32 s38, exec_lo
	s_delay_alu instid0(VALU_DEP_1)
	v_cmpx_gt_i64_e64 s[16:17], v[15:16]
	s_cbranch_execz .LBB9_8
; %bb.39:                               ;   in Loop: Header=BB9_9 Depth=1
	s_and_b32 vcc_lo, exec_lo, s11
	s_cbranch_vccz .LBB9_43
; %bb.40:                               ;   in Loop: Header=BB9_9 Depth=1
	v_mul_hi_u32 v0, v15, s6
	s_and_not1_b32 vcc_lo, exec_lo, s4
	s_delay_alu instid0(VALU_DEP_1) | instskip(NEXT) | instid1(VALU_DEP_1)
	v_add_nc_u32_e32 v0, v0, v15
	v_lshrrev_b32_e32 v0, s7, v0
	s_delay_alu instid0(VALU_DEP_1) | instskip(NEXT) | instid1(VALU_DEP_1)
	v_mul_lo_u32 v5, v0, s5
	v_sub_nc_u32_e32 v5, v15, v5
	s_waitcnt lgkmcnt(0)
	s_delay_alu instid0(VALU_DEP_1)
	v_mul_lo_u32 v5, v5, s22
	s_cbranch_vccnz .LBB9_42
; %bb.41:                               ;   in Loop: Header=BB9_9 Depth=1
	v_mul_hi_u32 v6, s9, v0
	s_delay_alu instid0(VALU_DEP_1) | instskip(NEXT) | instid1(VALU_DEP_1)
	v_add_nc_u32_e32 v6, v0, v6
	v_lshrrev_b32_e32 v6, s10, v6
	s_delay_alu instid0(VALU_DEP_1) | instskip(NEXT) | instid1(VALU_DEP_1)
	v_mul_lo_u32 v6, v6, s8
	v_sub_nc_u32_e32 v0, v0, v6
	s_delay_alu instid0(VALU_DEP_1) | instskip(NEXT) | instid1(VALU_DEP_1)
	v_mad_u64_u32 v[40:41], null, v0, s23, v[5:6]
	v_mov_b32_e32 v5, v40
.LBB9_42:                               ;   in Loop: Header=BB9_9 Depth=1
	s_cbranch_execz .LBB9_44
	s_branch .LBB9_52
.LBB9_43:                               ;   in Loop: Header=BB9_9 Depth=1
                                        ; implicit-def: $vgpr5
.LBB9_44:                               ;   in Loop: Header=BB9_9 Depth=1
	v_mov_b32_e32 v5, 0
	s_and_not1_b32 vcc_lo, exec_lo, s29
	s_cbranch_vccnz .LBB9_52
; %bb.45:                               ;   in Loop: Header=BB9_9 Depth=1
	s_and_not1_b32 vcc_lo, exec_lo, s31
	s_mov_b32 s0, 0
	s_cbranch_vccnz .LBB9_49
; %bb.46:                               ;   in Loop: Header=BB9_9 Depth=1
	v_mov_b32_e32 v5, 0
	s_mov_b32 s39, 0
	s_mov_b64 s[0:1], s[20:21]
	s_mov_b64 s[2:3], s[24:25]
.LBB9_47:                               ;   Parent Loop BB9_9 Depth=1
                                        ; =>  This Inner Loop Header: Depth=2
	s_clause 0x1
	s_load_b256 s[40:47], s[0:1], 0x4
	s_load_b128 s[48:51], s[0:1], 0x24
	s_load_b128 s[52:55], s[2:3], 0x0
	s_add_u32 s0, s0, 48
	s_addc_u32 s1, s1, 0
	s_add_i32 s39, s39, 4
	s_add_u32 s2, s2, 16
	s_addc_u32 s3, s3, 0
	s_cmp_eq_u32 s33, s39
	s_waitcnt lgkmcnt(0)
	v_mul_hi_u32 v0, s41, v15
	s_delay_alu instid0(VALU_DEP_1) | instskip(NEXT) | instid1(VALU_DEP_1)
	v_add_nc_u32_e32 v0, v15, v0
	v_lshrrev_b32_e32 v0, s42, v0
	s_delay_alu instid0(VALU_DEP_1) | instskip(SKIP_1) | instid1(VALU_DEP_2)
	v_mul_hi_u32 v6, s44, v0
	v_mul_lo_u32 v40, v0, s40
	v_add_nc_u32_e32 v6, v0, v6
	s_delay_alu instid0(VALU_DEP_2) | instskip(NEXT) | instid1(VALU_DEP_2)
	v_sub_nc_u32_e32 v40, v15, v40
	v_lshrrev_b32_e32 v6, s45, v6
	s_delay_alu instid0(VALU_DEP_2) | instskip(NEXT) | instid1(VALU_DEP_2)
	v_mul_lo_u32 v40, v40, s52
	v_mul_hi_u32 v9, s47, v6
	v_mul_lo_u32 v41, v6, s43
	s_delay_alu instid0(VALU_DEP_2) | instskip(NEXT) | instid1(VALU_DEP_2)
	v_add_nc_u32_e32 v9, v6, v9
	v_sub_nc_u32_e32 v0, v0, v41
	s_delay_alu instid0(VALU_DEP_2) | instskip(NEXT) | instid1(VALU_DEP_2)
	v_lshrrev_b32_e32 v9, s48, v9
	v_mul_lo_u32 v0, v0, s53
	s_delay_alu instid0(VALU_DEP_2) | instskip(NEXT) | instid1(VALU_DEP_2)
	v_mul_hi_u32 v16, s50, v9
	v_add3_u32 v0, v40, v5, v0
	s_delay_alu instid0(VALU_DEP_2) | instskip(NEXT) | instid1(VALU_DEP_1)
	v_add_nc_u32_e32 v16, v9, v16
	v_lshrrev_b32_e32 v15, s51, v16
	v_mul_lo_u32 v16, v9, s46
	s_delay_alu instid0(VALU_DEP_2) | instskip(NEXT) | instid1(VALU_DEP_2)
	v_mul_lo_u32 v42, v15, s49
	v_sub_nc_u32_e32 v6, v6, v16
	s_delay_alu instid0(VALU_DEP_2) | instskip(NEXT) | instid1(VALU_DEP_2)
	v_sub_nc_u32_e32 v9, v9, v42
	v_mul_lo_u32 v6, v6, s54
	s_delay_alu instid0(VALU_DEP_2) | instskip(NEXT) | instid1(VALU_DEP_1)
	v_mul_lo_u32 v9, v9, s55
	v_add3_u32 v5, v6, v0, v9
	s_cbranch_scc0 .LBB9_47
; %bb.48:                               ;   in Loop: Header=BB9_9 Depth=1
	s_mov_b32 s0, s33
.LBB9_49:                               ;   in Loop: Header=BB9_9 Depth=1
	s_and_not1_b32 vcc_lo, exec_lo, s34
	s_cbranch_vccnz .LBB9_52
; %bb.50:                               ;   in Loop: Header=BB9_9 Depth=1
	s_lshl_b32 s1, s0, 2
	s_mul_i32 s2, s0, 12
	s_add_u32 s0, s24, s1
	s_addc_u32 s1, s25, 0
	s_add_u32 s2, s20, s2
	s_addc_u32 s3, s21, 0
	s_mov_b32 s39, s30
	.p2align	6
.LBB9_51:                               ;   Parent Loop BB9_9 Depth=1
                                        ; =>  This Inner Loop Header: Depth=2
	s_clause 0x1
	s_load_b64 s[40:41], s[2:3], 0x4
	s_load_b32 s42, s[2:3], 0xc
	s_add_u32 s2, s2, 12
	s_addc_u32 s3, s3, 0
	s_waitcnt lgkmcnt(0)
	v_mul_hi_u32 v0, s41, v15
	s_load_b32 s41, s[0:1], 0x0
	s_add_u32 s0, s0, 4
	s_addc_u32 s1, s1, 0
	s_add_i32 s39, s39, -1
	s_delay_alu instid0(SALU_CYCLE_1) | instskip(NEXT) | instid1(VALU_DEP_1)
	s_cmp_eq_u32 s39, 0
	v_add_nc_u32_e32 v0, v15, v0
	s_delay_alu instid0(VALU_DEP_1) | instskip(NEXT) | instid1(VALU_DEP_1)
	v_lshrrev_b32_e32 v0, s42, v0
	v_mul_lo_u32 v6, v0, s40
	s_delay_alu instid0(VALU_DEP_1) | instskip(SKIP_2) | instid1(VALU_DEP_2)
	v_sub_nc_u32_e32 v6, v15, v6
	v_mov_b32_e32 v15, v0
	s_waitcnt lgkmcnt(0)
	v_mad_u64_u32 v[40:41], null, v6, s41, v[5:6]
	s_delay_alu instid0(VALU_DEP_1)
	v_mov_b32_e32 v5, v40
	s_cbranch_scc0 .LBB9_51
.LBB9_52:                               ;   in Loop: Header=BB9_9 Depth=1
	v_lshrrev_b32_e32 v0, 11, v8
	v_cvt_f64_u32_e32 v[6:7], v7
	s_mov_b32 s1, exec_lo
	s_delay_alu instid0(VALU_DEP_2) | instskip(NEXT) | instid1(VALU_DEP_1)
	v_cvt_f64_u32_e32 v[8:9], v0
	v_ldexp_f64 v[8:9], v[8:9], 32
	s_delay_alu instid0(VALU_DEP_1) | instskip(NEXT) | instid1(VALU_DEP_1)
	v_add_f64 v[6:7], v[8:9], v[6:7]
                                        ; implicit-def: $vgpr8
	v_fma_f64 v[6:7], 0x3ca00000, v[6:7], 0x3ca00000
	s_delay_alu instid0(VALU_DEP_1) | instskip(NEXT) | instid1(VALU_DEP_1)
	v_cvt_f32_f64_e32 v0, v[6:7]
	v_cmp_nlt_f32_e32 vcc_lo, 0x3f7ffffe, v0
	v_cndmask_b32_e32 v0, 0x3f7ffffe, v0, vcc_lo
	s_delay_alu instid0(VALU_DEP_1) | instskip(SKIP_1) | instid1(VALU_DEP_1)
	v_cmp_ngt_f32_e32 vcc_lo, 0x34000000, v0
	v_cndmask_b32_e32 v0, 0x34000000, v0, vcc_lo
	v_add_f32_e32 v0, -0.5, v0
	s_delay_alu instid0(VALU_DEP_1) | instskip(NEXT) | instid1(VALU_DEP_1)
	v_mul_f32_e32 v6, 0x40490fdb, v0
                                        ; implicit-def: $vgpr0
	v_and_b32_e32 v7, 0x7fffffff, v6
	v_cmpx_ngt_f32_e64 0x48000000, |v6|
	s_xor_b32 s3, exec_lo, s1
	s_cbranch_execz .LBB9_54
; %bb.53:                               ;   in Loop: Header=BB9_9 Depth=1
	s_delay_alu instid0(VALU_DEP_2) | instskip(NEXT) | instid1(VALU_DEP_1)
	v_and_or_b32 v46, v7, s35, 0x800000
	v_mad_u64_u32 v[8:9], null, 0xfe5163ab, v46, 0
	s_delay_alu instid0(VALU_DEP_1) | instskip(SKIP_1) | instid1(VALU_DEP_1)
	v_mov_b32_e32 v0, v9
	v_lshrrev_b32_e32 v9, 23, v7
	v_add_nc_u32_e32 v9, 0xffffff88, v9
	s_delay_alu instid0(VALU_DEP_3) | instskip(NEXT) | instid1(VALU_DEP_2)
	v_mad_u64_u32 v[15:16], null, 0x3c439041, v46, v[0:1]
	v_cmp_lt_u32_e32 vcc_lo, 63, v9
	s_delay_alu instid0(VALU_DEP_2) | instskip(SKIP_1) | instid1(VALU_DEP_2)
	v_mov_b32_e32 v0, v16
	v_cndmask_b32_e64 v16, 0, 0xffffffc0, vcc_lo
	v_mad_u64_u32 v[40:41], null, 0xdb629599, v46, v[0:1]
	s_delay_alu instid0(VALU_DEP_2) | instskip(NEXT) | instid1(VALU_DEP_1)
	v_add_nc_u32_e32 v9, v16, v9
	v_cmp_lt_u32_e64 s0, 31, v9
	s_delay_alu instid0(VALU_DEP_3) | instskip(NEXT) | instid1(VALU_DEP_4)
	v_mov_b32_e32 v0, v41
	v_cndmask_b32_e32 v8, v40, v8, vcc_lo
	s_delay_alu instid0(VALU_DEP_3) | instskip(NEXT) | instid1(VALU_DEP_3)
	v_cndmask_b32_e64 v16, 0, 0xffffffe0, s0
	v_mad_u64_u32 v[41:42], null, 0xf534ddc0, v46, v[0:1]
	s_delay_alu instid0(VALU_DEP_1) | instskip(NEXT) | instid1(VALU_DEP_1)
	v_dual_mov_b32 v0, v42 :: v_dual_add_nc_u32 v9, v16, v9
	v_cmp_lt_u32_e64 s1, 31, v9
	s_delay_alu instid0(VALU_DEP_2) | instskip(NEXT) | instid1(VALU_DEP_1)
	v_mad_u64_u32 v[42:43], null, 0xfc2757d1, v46, v[0:1]
	v_mov_b32_e32 v0, v43
	s_delay_alu instid0(VALU_DEP_1) | instskip(NEXT) | instid1(VALU_DEP_1)
	v_mad_u64_u32 v[43:44], null, 0x4e441529, v46, v[0:1]
	v_mov_b32_e32 v0, v44
	s_delay_alu instid0(VALU_DEP_2) | instskip(NEXT) | instid1(VALU_DEP_2)
	v_cndmask_b32_e32 v16, v43, v41, vcc_lo
	v_mad_u64_u32 v[44:45], null, 0xa2f9836e, v46, v[0:1]
	v_cndmask_b32_e64 v0, 0, 0xffffffe0, s1
	s_delay_alu instid0(VALU_DEP_1) | instskip(NEXT) | instid1(VALU_DEP_3)
	v_add_nc_u32_e32 v0, v0, v9
	v_dual_cndmask_b32 v44, v44, v42 :: v_dual_cndmask_b32 v43, v45, v43
	v_dual_cndmask_b32 v42, v42, v40 :: v_dual_cndmask_b32 v9, v41, v15
	s_delay_alu instid0(VALU_DEP_3) | instskip(NEXT) | instid1(VALU_DEP_3)
	v_cmp_eq_u32_e64 s2, 0, v0
	v_cndmask_b32_e64 v15, v44, v16, s0
	s_delay_alu instid0(VALU_DEP_4) | instskip(NEXT) | instid1(VALU_DEP_4)
	v_cndmask_b32_e64 v41, v43, v44, s0
	v_cndmask_b32_e64 v16, v16, v42, s0
	v_sub_nc_u32_e32 v43, 32, v0
	v_cndmask_b32_e64 v42, v42, v9, s0
	v_cndmask_b32_e64 v8, v9, v8, s0
	;; [unrolled: 1-line block ×4, first 2 shown]
	s_delay_alu instid0(VALU_DEP_4) | instskip(NEXT) | instid1(VALU_DEP_4)
	v_cndmask_b32_e64 v16, v16, v42, s1
	v_cndmask_b32_e64 v8, v42, v8, s1
	s_delay_alu instid0(VALU_DEP_3) | instskip(NEXT) | instid1(VALU_DEP_3)
	v_alignbit_b32 v44, v41, v15, v43
	v_alignbit_b32 v45, v15, v16, v43
	s_delay_alu instid0(VALU_DEP_3) | instskip(NEXT) | instid1(VALU_DEP_3)
	v_alignbit_b32 v43, v16, v8, v43
	v_cndmask_b32_e64 v0, v44, v41, s2
	s_delay_alu instid0(VALU_DEP_3) | instskip(NEXT) | instid1(VALU_DEP_3)
	v_cndmask_b32_e64 v15, v45, v15, s2
	v_cndmask_b32_e64 v16, v43, v16, s2
	s_delay_alu instid0(VALU_DEP_3) | instskip(NEXT) | instid1(VALU_DEP_3)
	v_bfe_u32 v40, v0, 29, 1
	v_alignbit_b32 v9, v0, v15, 30
	s_delay_alu instid0(VALU_DEP_3) | instskip(SKIP_1) | instid1(VALU_DEP_4)
	v_alignbit_b32 v15, v15, v16, 30
	v_alignbit_b32 v8, v16, v8, 30
	v_sub_nc_u32_e32 v41, 0, v40
	s_delay_alu instid0(VALU_DEP_1) | instskip(SKIP_3) | instid1(VALU_DEP_4)
	v_xor_b32_e32 v42, v9, v41
	v_cmp_ne_u32_e32 vcc_lo, v9, v41
	v_xor_b32_e32 v15, v15, v41
	v_xor_b32_e32 v8, v8, v41
	v_clz_i32_u32_e32 v44, v42
	s_delay_alu instid0(VALU_DEP_1) | instskip(NEXT) | instid1(VALU_DEP_1)
	v_add_nc_u32_e32 v43, 1, v44
	v_cndmask_b32_e32 v9, 33, v43, vcc_lo
	s_delay_alu instid0(VALU_DEP_1) | instskip(NEXT) | instid1(VALU_DEP_1)
	v_sub_nc_u32_e32 v16, 32, v9
	v_alignbit_b32 v41, v42, v15, v16
	v_alignbit_b32 v8, v15, v8, v16
	v_lshrrev_b32_e32 v15, 29, v0
	s_delay_alu instid0(VALU_DEP_2) | instskip(NEXT) | instid1(VALU_DEP_2)
	v_alignbit_b32 v16, v41, v8, 9
	v_lshlrev_b32_e32 v15, 31, v15
	v_alignbit_b32 v41, v9, v41, 9
	s_delay_alu instid0(VALU_DEP_3) | instskip(NEXT) | instid1(VALU_DEP_2)
	v_clz_i32_u32_e32 v42, v16
	v_or_b32_e32 v41, v41, v15
	v_or_b32_e32 v15, 0x33800000, v15
	s_delay_alu instid0(VALU_DEP_3) | instskip(NEXT) | instid1(VALU_DEP_3)
	v_min_u32_e32 v42, 32, v42
	v_xor_b32_e32 v41, 1.0, v41
	s_delay_alu instid0(VALU_DEP_2) | instskip(SKIP_1) | instid1(VALU_DEP_3)
	v_sub_nc_u32_e32 v43, 31, v42
	v_add_lshl_u32 v9, v42, v9, 23
	v_mul_f32_e32 v42, 0x3fc90fda, v41
	s_delay_alu instid0(VALU_DEP_3) | instskip(NEXT) | instid1(VALU_DEP_3)
	v_alignbit_b32 v8, v16, v8, v43
	v_sub_nc_u32_e32 v9, v15, v9
	s_delay_alu instid0(VALU_DEP_3) | instskip(NEXT) | instid1(VALU_DEP_3)
	v_fma_f32 v15, 0x3fc90fda, v41, -v42
	v_lshrrev_b32_e32 v8, 9, v8
	s_delay_alu instid0(VALU_DEP_2) | instskip(NEXT) | instid1(VALU_DEP_2)
	v_fmac_f32_e32 v15, 0x33a22168, v41
	v_or_b32_e32 v8, v9, v8
	s_delay_alu instid0(VALU_DEP_1) | instskip(SKIP_1) | instid1(VALU_DEP_2)
	v_fmac_f32_e32 v15, 0x3fc90fda, v8
	v_lshrrev_b32_e32 v8, 30, v0
	v_add_f32_e32 v0, v42, v15
	s_delay_alu instid0(VALU_DEP_2)
	v_add_nc_u32_e32 v8, v40, v8
.LBB9_54:                               ;   in Loop: Header=BB9_9 Depth=1
	s_and_not1_saveexec_b32 s0, s3
	s_cbranch_execz .LBB9_7
; %bb.55:                               ;   in Loop: Header=BB9_9 Depth=1
	v_mul_f32_e64 v0, 0x3f22f983, |v6|
	s_delay_alu instid0(VALU_DEP_1) | instskip(NEXT) | instid1(VALU_DEP_1)
	v_rndne_f32_e32 v8, v0
	v_fma_f32 v0, 0xbfc90fda, v8, |v6|
	s_delay_alu instid0(VALU_DEP_1) | instskip(NEXT) | instid1(VALU_DEP_1)
	v_fmac_f32_e32 v0, 0xb3a22168, v8
	v_fmac_f32_e32 v0, 0xa7c234c4, v8
	v_cvt_i32_f32_e32 v8, v8
	s_branch .LBB9_7
.LBB9_56:
	s_endpgm
.LBB9_57:
                                        ; implicit-def: $sgpr2_sgpr3
	s_branch .LBB9_4
	.section	.rodata,"a",@progbits
	.p2align	6, 0x0
	.amdhsa_kernel _ZN2at6native12_GLOBAL__N_143distribution_elementwise_grid_stride_kernelIfLi4EZNS0_9templates4cuda21uniform_and_transformIN3c104HalfEfPNS_17CUDAGeneratorImplEZZZNS4_13cauchy_kernelIS9_EEvRNS_18TensorIteratorBaseEddT_ENKUlvE_clEvENKUlvE1_clEvEUlfE_EEvSC_T1_T2_EUlP25hiprandStatePhilox4_32_10E_ZNS1_27distribution_nullary_kernelIS7_f15HIP_vector_typeIdLj2EES9_SL_SG_EEvSC_SI_RKT3_T4_EUlifE0_EEvlNS_15PhiloxCudaStateESH_SI_
		.amdhsa_group_segment_fixed_size 0
		.amdhsa_private_segment_fixed_size 0
		.amdhsa_kernarg_size 584
		.amdhsa_user_sgpr_count 15
		.amdhsa_user_sgpr_dispatch_ptr 0
		.amdhsa_user_sgpr_queue_ptr 0
		.amdhsa_user_sgpr_kernarg_segment_ptr 1
		.amdhsa_user_sgpr_dispatch_id 0
		.amdhsa_user_sgpr_private_segment_size 0
		.amdhsa_wavefront_size32 1
		.amdhsa_uses_dynamic_stack 0
		.amdhsa_enable_private_segment 0
		.amdhsa_system_sgpr_workgroup_id_x 1
		.amdhsa_system_sgpr_workgroup_id_y 0
		.amdhsa_system_sgpr_workgroup_id_z 0
		.amdhsa_system_sgpr_workgroup_info 0
		.amdhsa_system_vgpr_workitem_id 0
		.amdhsa_next_free_vgpr 48
		.amdhsa_next_free_sgpr 56
		.amdhsa_reserve_vcc 1
		.amdhsa_float_round_mode_32 0
		.amdhsa_float_round_mode_16_64 0
		.amdhsa_float_denorm_mode_32 3
		.amdhsa_float_denorm_mode_16_64 3
		.amdhsa_dx10_clamp 1
		.amdhsa_ieee_mode 1
		.amdhsa_fp16_overflow 0
		.amdhsa_workgroup_processor_mode 1
		.amdhsa_memory_ordered 1
		.amdhsa_forward_progress 0
		.amdhsa_shared_vgpr_count 0
		.amdhsa_exception_fp_ieee_invalid_op 0
		.amdhsa_exception_fp_denorm_src 0
		.amdhsa_exception_fp_ieee_div_zero 0
		.amdhsa_exception_fp_ieee_overflow 0
		.amdhsa_exception_fp_ieee_underflow 0
		.amdhsa_exception_fp_ieee_inexact 0
		.amdhsa_exception_int_div_zero 0
	.end_amdhsa_kernel
	.section	.text._ZN2at6native12_GLOBAL__N_143distribution_elementwise_grid_stride_kernelIfLi4EZNS0_9templates4cuda21uniform_and_transformIN3c104HalfEfPNS_17CUDAGeneratorImplEZZZNS4_13cauchy_kernelIS9_EEvRNS_18TensorIteratorBaseEddT_ENKUlvE_clEvENKUlvE1_clEvEUlfE_EEvSC_T1_T2_EUlP25hiprandStatePhilox4_32_10E_ZNS1_27distribution_nullary_kernelIS7_f15HIP_vector_typeIdLj2EES9_SL_SG_EEvSC_SI_RKT3_T4_EUlifE0_EEvlNS_15PhiloxCudaStateESH_SI_,"axG",@progbits,_ZN2at6native12_GLOBAL__N_143distribution_elementwise_grid_stride_kernelIfLi4EZNS0_9templates4cuda21uniform_and_transformIN3c104HalfEfPNS_17CUDAGeneratorImplEZZZNS4_13cauchy_kernelIS9_EEvRNS_18TensorIteratorBaseEddT_ENKUlvE_clEvENKUlvE1_clEvEUlfE_EEvSC_T1_T2_EUlP25hiprandStatePhilox4_32_10E_ZNS1_27distribution_nullary_kernelIS7_f15HIP_vector_typeIdLj2EES9_SL_SG_EEvSC_SI_RKT3_T4_EUlifE0_EEvlNS_15PhiloxCudaStateESH_SI_,comdat
.Lfunc_end9:
	.size	_ZN2at6native12_GLOBAL__N_143distribution_elementwise_grid_stride_kernelIfLi4EZNS0_9templates4cuda21uniform_and_transformIN3c104HalfEfPNS_17CUDAGeneratorImplEZZZNS4_13cauchy_kernelIS9_EEvRNS_18TensorIteratorBaseEddT_ENKUlvE_clEvENKUlvE1_clEvEUlfE_EEvSC_T1_T2_EUlP25hiprandStatePhilox4_32_10E_ZNS1_27distribution_nullary_kernelIS7_f15HIP_vector_typeIdLj2EES9_SL_SG_EEvSC_SI_RKT3_T4_EUlifE0_EEvlNS_15PhiloxCudaStateESH_SI_, .Lfunc_end9-_ZN2at6native12_GLOBAL__N_143distribution_elementwise_grid_stride_kernelIfLi4EZNS0_9templates4cuda21uniform_and_transformIN3c104HalfEfPNS_17CUDAGeneratorImplEZZZNS4_13cauchy_kernelIS9_EEvRNS_18TensorIteratorBaseEddT_ENKUlvE_clEvENKUlvE1_clEvEUlfE_EEvSC_T1_T2_EUlP25hiprandStatePhilox4_32_10E_ZNS1_27distribution_nullary_kernelIS7_f15HIP_vector_typeIdLj2EES9_SL_SG_EEvSC_SI_RKT3_T4_EUlifE0_EEvlNS_15PhiloxCudaStateESH_SI_
                                        ; -- End function
	.section	.AMDGPU.csdata,"",@progbits
; Kernel info:
; codeLenInByte = 5992
; NumSgprs: 58
; NumVgprs: 48
; ScratchSize: 0
; MemoryBound: 0
; FloatMode: 240
; IeeeMode: 1
; LDSByteSize: 0 bytes/workgroup (compile time only)
; SGPRBlocks: 7
; VGPRBlocks: 5
; NumSGPRsForWavesPerEU: 58
; NumVGPRsForWavesPerEU: 48
; Occupancy: 16
; WaveLimiterHint : 1
; COMPUTE_PGM_RSRC2:SCRATCH_EN: 0
; COMPUTE_PGM_RSRC2:USER_SGPR: 15
; COMPUTE_PGM_RSRC2:TRAP_HANDLER: 0
; COMPUTE_PGM_RSRC2:TGID_X_EN: 1
; COMPUTE_PGM_RSRC2:TGID_Y_EN: 0
; COMPUTE_PGM_RSRC2:TGID_Z_EN: 0
; COMPUTE_PGM_RSRC2:TIDIG_COMP_CNT: 0
	.section	.text._ZN2at6native12_GLOBAL__N_143distribution_elementwise_grid_stride_kernelIfLi4EZNS0_9templates4cuda21uniform_and_transformIN3c104HalfEfPNS_17CUDAGeneratorImplEZZZNS4_13cauchy_kernelIS9_EEvRNS_18TensorIteratorBaseEddT_ENKUlvE_clEvENKUlvE1_clEvEUlfE_EEvSC_T1_T2_EUlP25hiprandStatePhilox4_32_10E0_ZNS1_27distribution_nullary_kernelIS7_f15HIP_vector_typeIfLj4EES9_SL_SG_EEvSC_SI_RKT3_T4_EUlifE_EEvlNS_15PhiloxCudaStateESH_SI_,"axG",@progbits,_ZN2at6native12_GLOBAL__N_143distribution_elementwise_grid_stride_kernelIfLi4EZNS0_9templates4cuda21uniform_and_transformIN3c104HalfEfPNS_17CUDAGeneratorImplEZZZNS4_13cauchy_kernelIS9_EEvRNS_18TensorIteratorBaseEddT_ENKUlvE_clEvENKUlvE1_clEvEUlfE_EEvSC_T1_T2_EUlP25hiprandStatePhilox4_32_10E0_ZNS1_27distribution_nullary_kernelIS7_f15HIP_vector_typeIfLj4EES9_SL_SG_EEvSC_SI_RKT3_T4_EUlifE_EEvlNS_15PhiloxCudaStateESH_SI_,comdat
	.globl	_ZN2at6native12_GLOBAL__N_143distribution_elementwise_grid_stride_kernelIfLi4EZNS0_9templates4cuda21uniform_and_transformIN3c104HalfEfPNS_17CUDAGeneratorImplEZZZNS4_13cauchy_kernelIS9_EEvRNS_18TensorIteratorBaseEddT_ENKUlvE_clEvENKUlvE1_clEvEUlfE_EEvSC_T1_T2_EUlP25hiprandStatePhilox4_32_10E0_ZNS1_27distribution_nullary_kernelIS7_f15HIP_vector_typeIfLj4EES9_SL_SG_EEvSC_SI_RKT3_T4_EUlifE_EEvlNS_15PhiloxCudaStateESH_SI_ ; -- Begin function _ZN2at6native12_GLOBAL__N_143distribution_elementwise_grid_stride_kernelIfLi4EZNS0_9templates4cuda21uniform_and_transformIN3c104HalfEfPNS_17CUDAGeneratorImplEZZZNS4_13cauchy_kernelIS9_EEvRNS_18TensorIteratorBaseEddT_ENKUlvE_clEvENKUlvE1_clEvEUlfE_EEvSC_T1_T2_EUlP25hiprandStatePhilox4_32_10E0_ZNS1_27distribution_nullary_kernelIS7_f15HIP_vector_typeIfLj4EES9_SL_SG_EEvSC_SI_RKT3_T4_EUlifE_EEvlNS_15PhiloxCudaStateESH_SI_
	.p2align	8
	.type	_ZN2at6native12_GLOBAL__N_143distribution_elementwise_grid_stride_kernelIfLi4EZNS0_9templates4cuda21uniform_and_transformIN3c104HalfEfPNS_17CUDAGeneratorImplEZZZNS4_13cauchy_kernelIS9_EEvRNS_18TensorIteratorBaseEddT_ENKUlvE_clEvENKUlvE1_clEvEUlfE_EEvSC_T1_T2_EUlP25hiprandStatePhilox4_32_10E0_ZNS1_27distribution_nullary_kernelIS7_f15HIP_vector_typeIfLj4EES9_SL_SG_EEvSC_SI_RKT3_T4_EUlifE_EEvlNS_15PhiloxCudaStateESH_SI_,@function
_ZN2at6native12_GLOBAL__N_143distribution_elementwise_grid_stride_kernelIfLi4EZNS0_9templates4cuda21uniform_and_transformIN3c104HalfEfPNS_17CUDAGeneratorImplEZZZNS4_13cauchy_kernelIS9_EEvRNS_18TensorIteratorBaseEddT_ENKUlvE_clEvENKUlvE1_clEvEUlfE_EEvSC_T1_T2_EUlP25hiprandStatePhilox4_32_10E0_ZNS1_27distribution_nullary_kernelIS7_f15HIP_vector_typeIfLj4EES9_SL_SG_EEvSC_SI_RKT3_T4_EUlifE_EEvlNS_15PhiloxCudaStateESH_SI_: ; @_ZN2at6native12_GLOBAL__N_143distribution_elementwise_grid_stride_kernelIfLi4EZNS0_9templates4cuda21uniform_and_transformIN3c104HalfEfPNS_17CUDAGeneratorImplEZZZNS4_13cauchy_kernelIS9_EEvRNS_18TensorIteratorBaseEddT_ENKUlvE_clEvENKUlvE1_clEvEUlfE_EEvSC_T1_T2_EUlP25hiprandStatePhilox4_32_10E0_ZNS1_27distribution_nullary_kernelIS7_f15HIP_vector_typeIfLj4EES9_SL_SG_EEvSC_SI_RKT3_T4_EUlifE_EEvlNS_15PhiloxCudaStateESH_SI_
; %bb.0:
	s_clause 0x2
	s_load_b64 s[8:9], s[0:1], 0x10
	s_load_b128 s[4:7], s[0:1], 0x0
	s_load_b32 s2, s[0:1], 0x20
	s_waitcnt lgkmcnt(0)
	v_dual_mov_b32 v2, s8 :: v_dual_mov_b32 v3, s9
	v_dual_mov_b32 v11, s7 :: v_dual_mov_b32 v10, s6
	s_bitcmp0_b32 s2, 0
	s_mov_b32 s2, 0
	s_cbranch_scc1 .LBB10_2
; %bb.1:
	v_dual_mov_b32 v1, s8 :: v_dual_mov_b32 v2, s9
	v_dual_mov_b32 v4, s6 :: v_dual_mov_b32 v5, s7
	s_load_b64 s[6:7], s[0:1], 0x18
	flat_load_b64 v[2:3], v[1:2]
	flat_load_b64 v[10:11], v[4:5]
	s_waitcnt vmcnt(1) lgkmcnt(0)
	v_add_co_u32 v2, vcc_lo, v2, s6
	v_add_co_ci_u32_e32 v3, vcc_lo, s7, v3, vcc_lo
.LBB10_2:
	s_clause 0x1
	s_load_b32 s3, s[0:1], 0x54
	s_load_b32 s20, s[0:1], 0x48
	s_waitcnt lgkmcnt(0)
	s_and_b32 s19, s3, 0xffff
	s_add_u32 s6, s4, -1
	s_mul_i32 s14, s20, s19
	s_addc_u32 s3, s5, -1
	s_lshl_b32 s16, s14, 2
	s_cmp_lg_u64 s[2:3], 0
	s_cbranch_scc0 .LBB10_43
; %bb.3:
	v_cvt_f32_ubyte0_e32 v1, 0
	v_cvt_f32_u32_e32 v4, s16
	s_sub_u32 s8, 0, s16
	s_subb_u32 s9, 0, 0
	s_delay_alu instid0(VALU_DEP_1) | instskip(NEXT) | instid1(VALU_DEP_1)
	v_fmamk_f32 v1, v1, 0x4f800000, v4
	v_rcp_f32_e32 v1, v1
	s_waitcnt_depctr 0xfff
	v_mul_f32_e32 v1, 0x5f7ffffc, v1
	s_delay_alu instid0(VALU_DEP_1) | instskip(NEXT) | instid1(VALU_DEP_1)
	v_mul_f32_e32 v4, 0x2f800000, v1
	v_trunc_f32_e32 v4, v4
	s_delay_alu instid0(VALU_DEP_1) | instskip(SKIP_1) | instid1(VALU_DEP_2)
	v_fmamk_f32 v1, v4, 0xcf800000, v1
	v_cvt_u32_f32_e32 v4, v4
	v_cvt_u32_f32_e32 v1, v1
	s_delay_alu instid0(VALU_DEP_2) | instskip(NEXT) | instid1(VALU_DEP_2)
	v_readfirstlane_b32 s2, v4
	v_readfirstlane_b32 s7, v1
	s_delay_alu instid0(VALU_DEP_2) | instskip(NEXT) | instid1(VALU_DEP_1)
	s_mul_i32 s10, s8, s2
	s_mul_hi_u32 s12, s8, s7
	s_mul_i32 s11, s9, s7
	s_add_i32 s10, s12, s10
	s_mul_i32 s13, s8, s7
	s_add_i32 s10, s10, s11
	s_mul_hi_u32 s12, s7, s13
	s_mul_hi_u32 s17, s2, s13
	s_mul_i32 s11, s2, s13
	s_mul_hi_u32 s13, s7, s10
	s_mul_i32 s7, s7, s10
	s_mul_hi_u32 s18, s2, s10
	s_add_u32 s7, s12, s7
	s_addc_u32 s12, 0, s13
	s_add_u32 s7, s7, s11
	s_mul_i32 s10, s2, s10
	s_addc_u32 s7, s12, s17
	s_addc_u32 s11, s18, 0
	s_add_u32 s7, s7, s10
	s_addc_u32 s10, 0, s11
	v_add_co_u32 v1, s7, v1, s7
	s_delay_alu instid0(VALU_DEP_1) | instskip(SKIP_1) | instid1(VALU_DEP_1)
	s_cmp_lg_u32 s7, 0
	s_addc_u32 s2, s2, s10
	v_readfirstlane_b32 s7, v1
	s_mul_i32 s10, s8, s2
	s_delay_alu instid0(VALU_DEP_1)
	s_mul_hi_u32 s11, s8, s7
	s_mul_i32 s9, s9, s7
	s_add_i32 s10, s11, s10
	s_mul_i32 s8, s8, s7
	s_add_i32 s10, s10, s9
	s_mul_hi_u32 s11, s2, s8
	s_mul_i32 s12, s2, s8
	s_mul_hi_u32 s8, s7, s8
	s_mul_hi_u32 s13, s7, s10
	s_mul_i32 s7, s7, s10
	s_mul_hi_u32 s9, s2, s10
	s_add_u32 s7, s8, s7
	s_addc_u32 s8, 0, s13
	s_add_u32 s7, s7, s12
	s_mul_i32 s10, s2, s10
	s_addc_u32 s7, s8, s11
	s_addc_u32 s8, s9, 0
	s_add_u32 s7, s7, s10
	s_addc_u32 s8, 0, s8
	v_add_co_u32 v1, s7, v1, s7
	s_delay_alu instid0(VALU_DEP_1) | instskip(SKIP_2) | instid1(VALU_DEP_1)
	s_cmp_lg_u32 s7, 0
	s_addc_u32 s7, s2, s8
	s_ashr_i32 s8, s3, 31
	v_readfirstlane_b32 s10, v1
	s_add_u32 s2, s6, s8
	s_mov_b32 s9, s8
	s_addc_u32 s3, s3, s8
	s_delay_alu instid0(SALU_CYCLE_1) | instskip(NEXT) | instid1(SALU_CYCLE_1)
	s_xor_b64 s[2:3], s[2:3], s[8:9]
	s_mul_i32 s12, s2, s7
	s_mul_hi_u32 s13, s2, s10
	s_mul_hi_u32 s11, s2, s7
	s_mul_hi_u32 s18, s3, s10
	s_mul_i32 s10, s3, s10
	s_add_u32 s12, s13, s12
	s_addc_u32 s11, 0, s11
	s_mul_hi_u32 s17, s3, s7
	s_add_u32 s10, s12, s10
	s_mul_i32 s7, s3, s7
	s_addc_u32 s10, s11, s18
	s_addc_u32 s11, s17, 0
	s_add_u32 s7, s10, s7
	s_addc_u32 s10, 0, s11
	s_mul_i32 s12, s16, s7
	s_add_u32 s11, s7, 1
	v_sub_co_u32 v1, s2, s2, s12
	s_mul_hi_u32 s12, s16, s7
	s_addc_u32 s13, s10, 0
	s_mul_i32 s17, s16, s10
	s_delay_alu instid0(VALU_DEP_1)
	v_sub_co_u32 v4, s18, v1, s16
	s_add_u32 s21, s7, 2
	s_addc_u32 s22, s10, 0
	s_add_i32 s12, s12, s17
	s_cmp_lg_u32 s2, 0
	v_readfirstlane_b32 s2, v4
	s_subb_u32 s3, s3, s12
	s_cmp_lg_u32 s18, 0
	s_subb_u32 s12, s3, 0
	s_delay_alu instid0(VALU_DEP_1) | instskip(SKIP_4) | instid1(SALU_CYCLE_1)
	s_cmp_ge_u32 s2, s16
	s_cselect_b32 s2, -1, 0
	s_cmp_eq_u32 s12, 0
	v_readfirstlane_b32 s12, v1
	s_cselect_b32 s2, s2, -1
	s_cmp_lg_u32 s2, 0
	s_cselect_b32 s2, s21, s11
	s_cselect_b32 s11, s22, s13
	s_cmp_ge_u32 s12, s16
	s_cselect_b32 s12, -1, 0
	s_cmp_eq_u32 s3, 0
	s_cselect_b32 s3, s12, -1
	s_delay_alu instid0(SALU_CYCLE_1) | instskip(SKIP_2) | instid1(SALU_CYCLE_1)
	s_cmp_lg_u32 s3, 0
	s_cselect_b32 s3, s11, s10
	s_cselect_b32 s2, s2, s7
	s_xor_b64 s[2:3], s[2:3], s[8:9]
	s_delay_alu instid0(SALU_CYCLE_1)
	s_sub_u32 s2, s2, s8
	s_subb_u32 s3, s3, s8
	s_cbranch_execnz .LBB10_5
.LBB10_4:
	v_cvt_f32_u32_e32 v1, s16
	s_sub_i32 s3, 0, s16
	s_delay_alu instid0(VALU_DEP_1) | instskip(SKIP_2) | instid1(VALU_DEP_1)
	v_rcp_iflag_f32_e32 v1, v1
	s_waitcnt_depctr 0xfff
	v_mul_f32_e32 v1, 0x4f7ffffe, v1
	v_cvt_u32_f32_e32 v1, v1
	s_delay_alu instid0(VALU_DEP_1) | instskip(NEXT) | instid1(VALU_DEP_1)
	v_readfirstlane_b32 s2, v1
	s_mul_i32 s3, s3, s2
	s_delay_alu instid0(SALU_CYCLE_1) | instskip(NEXT) | instid1(SALU_CYCLE_1)
	s_mul_hi_u32 s3, s2, s3
	s_add_i32 s2, s2, s3
	s_delay_alu instid0(SALU_CYCLE_1) | instskip(NEXT) | instid1(SALU_CYCLE_1)
	s_mul_hi_u32 s2, s6, s2
	s_mul_i32 s3, s2, s16
	s_delay_alu instid0(SALU_CYCLE_1)
	s_sub_i32 s3, s6, s3
	s_add_i32 s6, s2, 1
	s_sub_i32 s7, s3, s16
	s_cmp_ge_u32 s3, s16
	s_cselect_b32 s2, s6, s2
	s_cselect_b32 s3, s7, s3
	s_add_i32 s6, s2, 1
	s_cmp_ge_u32 s3, s16
	s_mov_b32 s3, 0
	s_cselect_b32 s2, s6, s2
.LBB10_5:
	v_mov_b32_e32 v1, 0
	s_add_u32 s2, s2, 1
	s_addc_u32 s3, s3, 0
	s_mul_hi_u32 s6, s14, s2
	s_mul_i32 s3, s14, s3
	v_mad_u64_u32 v[12:13], null, s19, s15, v[0:1]
	s_mul_hi_u32 s7, s20, s19
	s_add_i32 s3, s6, s3
	s_mul_i32 s7, s7, s2
	s_mul_i32 s2, s14, s2
	s_add_i32 s3, s3, s7
	s_delay_alu instid0(SALU_CYCLE_1)
	s_lshl_b64 s[6:7], s[2:3], 2
	s_mov_b32 s2, exec_lo
	v_cmpx_gt_i64_e64 s[6:7], v[12:13]
	s_cbranch_execz .LBB10_42
; %bb.6:
	v_alignbit_b32 v16, v3, v2, 2
	v_mad_u64_u32 v[4:5], null, 0xcd9e8d57, v12, 0
	v_lshrrev_b32_e32 v17, 2, v3
	s_waitcnt vmcnt(0)
	v_dual_mov_b32 v37, v11 :: v_dual_add_nc_u32 v28, 0x96a522ad, v11
	v_mad_u64_u32 v[6:7], null, 0xd2511f53, v16, 0
	v_add_co_u32 v19, null, 0x9e3779b9, v10
	v_xor3_b32 v3, v10, v5, v17
	s_delay_alu instid0(VALU_DEP_4) | instskip(SKIP_2) | instid1(VALU_DEP_4)
	v_add_co_u32 v18, null, 0xbb67ae85, v37
	v_add_co_u32 v20, null, 0x3c6ef372, v10
	v_xor_b32_e32 v5, v7, v11
	v_mad_u64_u32 v[7:8], null, 0xd2511f53, v3, 0
	v_add_co_u32 v21, null, 0x76cf5d0a, v37
	s_delay_alu instid0(VALU_DEP_3) | instskip(SKIP_2) | instid1(VALU_DEP_3)
	v_xor_b32_e32 v3, v5, v13
	v_add_co_u32 v22, null, 0x32370b8f, v37
	v_add_co_u32 v23, null, 0xdaa66d2b, v10
	v_mad_u64_u32 v[14:15], null, 0xcd9e8d57, v3, 0
	v_xor3_b32 v3, v18, v8, v6
	v_add_co_u32 v24, null, 0x78dde6e4, v10
	v_dual_mov_b32 v36, v12 :: v_dual_and_b32 v25, 3, v2
	s_delay_alu instid0(VALU_DEP_3) | instskip(SKIP_3) | instid1(VALU_DEP_3)
	v_mad_u64_u32 v[5:6], null, 0xcd9e8d57, v3, 0
	v_xor3_b32 v8, v19, v15, v4
	v_add_co_u32 v26, null, 0xed9eba14, v37
	v_add_co_u32 v29, null, 0xa9066899, v37
	v_mad_u64_u32 v[3:4], null, 0xd2511f53, v8, 0
	v_xor3_b32 v6, v20, v6, v14
	v_add_co_u32 v31, null, 0x1715609d, v10
	v_add_co_u32 v32, null, 0xb54cda56, v10
	s_delay_alu instid0(VALU_DEP_3) | instskip(SKIP_3) | instid1(VALU_DEP_3)
	v_mad_u64_u32 v[8:9], null, 0xd2511f53, v6, 0
	v_xor3_b32 v4, v21, v4, v7
	v_add_co_u32 v34, null, 0x646e171e, v37
	v_add_co_u32 v30, null, 0x5384540f, v10
	v_mad_u64_u32 v[6:7], null, 0xcd9e8d57, v4, 0
	v_xor3_b32 v9, v22, v9, v3
	v_add_co_u32 v35, null, 0x1fd5c5a3, v37
	s_clause 0x1
	s_load_b128 s[8:11], s[0:1], 0x38
	s_load_b64 s[12:13], s[0:1], 0x30
	v_add_co_u32 v33, null, 0xf1bbcdc8, v10
	v_mad_u64_u32 v[3:4], null, 0xcd9e8d57, v9, 0
	v_xor3_b32 v5, v23, v7, v5
	s_mul_i32 s0, s20, 3
	v_add_co_u32 v37, null, 0xdb3d7428, v37
	s_lshl_b32 s1, s20, 1
	s_delay_alu instid0(VALU_DEP_2) | instskip(NEXT) | instid1(VALU_DEP_4)
	v_mad_u64_u32 v[14:15], null, 0xd2511f53, v5, 0
	v_xor3_b32 v2, v24, v4, v6
	s_add_i32 s0, s15, s0
	s_add_i32 s2, s15, s20
	v_mad_u64_u32 v[39:40], null, s0, s19, v[0:1]
	s_delay_alu instid0(VALU_DEP_2) | instskip(NEXT) | instid1(VALU_DEP_4)
	v_mad_u64_u32 v[4:5], null, 0xd2511f53, v2, 0
	v_xor3_b32 v2, v26, v15, v8
	s_waitcnt lgkmcnt(0)
	s_mul_i32 s0, s20, s8
	s_mov_b32 s3, 0
	s_mul_i32 s0, s0, s19
	s_delay_alu instid0(VALU_DEP_3)
	v_mul_lo_u32 v39, s8, v39
	v_mad_u64_u32 v[6:7], null, 0xcd9e8d57, v2, 0
	v_xor3_b32 v2, v29, v5, v14
	s_lshl_b32 s11, s14, 1
	s_mul_i32 s17, s14, 3
	s_mov_b32 s18, 0x7fffff
	s_mov_b32 s20, 0
	v_mad_u64_u32 v[8:9], null, 0xcd9e8d57, v2, 0
	s_delay_alu instid0(VALU_DEP_3) | instskip(NEXT) | instid1(VALU_DEP_1)
	v_xor3_b32 v5, v31, v7, v3
	v_mad_u64_u32 v[2:3], null, 0xd2511f53, v5, 0
	s_delay_alu instid0(VALU_DEP_3) | instskip(SKIP_2) | instid1(SALU_CYCLE_1)
	v_xor3_b32 v7, v32, v9, v6
	v_mad_u64_u32 v[5:6], null, s15, s19, v[0:1]
	s_add_i32 s15, s15, s1
	v_mad_u64_u32 v[40:41], null, s15, s19, v[0:1]
	s_delay_alu instid0(VALU_DEP_4) | instskip(SKIP_1) | instid1(VALU_DEP_4)
	v_xor3_b32 v9, v34, v3, v4
	v_mad_u64_u32 v[3:4], null, 0xd2511f53, v7, 0
	v_mul_lo_u32 v38, s8, v5
	s_mov_b32 s15, 0xbc8cedd3
	s_delay_alu instid0(VALU_DEP_3) | instskip(SKIP_1) | instid1(VALU_DEP_4)
	v_mad_u64_u32 v[6:7], null, 0xcd9e8d57, v9, 0
	v_mul_lo_u32 v40, s8, v40
	v_xor3_b32 v2, v35, v4, v2
	s_delay_alu instid0(VALU_DEP_3) | instskip(NEXT) | instid1(VALU_DEP_2)
	v_xor3_b32 v4, v30, v7, v8
	v_mad_u64_u32 v[14:15], null, 0xcd9e8d57, v2, 0
	v_mad_u64_u32 v[8:9], null, s2, s19, v[0:1]
	s_delay_alu instid0(VALU_DEP_3) | instskip(SKIP_1) | instid1(VALU_DEP_3)
	v_mad_u64_u32 v[42:43], null, 0xd2511f53, v4, 0
	s_mov_b32 s19, 0x3c971480
	v_xor3_b32 v4, v33, v15, v6
	s_delay_alu instid0(VALU_DEP_3) | instskip(SKIP_1) | instid1(VALU_DEP_3)
	v_mul_lo_u32 v41, s8, v8
	s_lshl_b32 s8, s0, 2
	v_xor3_b32 v0, v37, v43, v3
	s_delay_alu instid0(VALU_DEP_3) | instskip(SKIP_1) | instid1(VALU_DEP_3)
	v_mad_u64_u32 v[2:3], null, 0xd2511f53, v4, 0
	v_add_nc_u32_e32 v27, 0x8ff34781, v10
	v_mad_u64_u32 v[6:7], null, 0xcd9e8d57, v0, 0
	s_delay_alu instid0(VALU_DEP_3) | instskip(NEXT) | instid1(VALU_DEP_2)
	v_mov_b32_e32 v8, v2
	v_xor3_b32 v5, v7, v14, v27
	v_xor3_b32 v7, v3, v42, v28
	v_mov_b32_e32 v42, v13
	s_branch .LBB10_9
.LBB10_7:                               ;   in Loop: Header=BB10_9 Depth=1
	s_or_b32 exec_lo, exec_lo, s0
	s_delay_alu instid0(VALU_DEP_1) | instskip(NEXT) | instid1(VALU_DEP_1)
	v_dual_mul_f32 v8, v0, v0 :: v_dual_and_b32 v7, 1, v7
	v_fmaak_f32 v9, s19, v8, 0xbf039337
	v_fmaak_f32 v15, s15, v8, 0x3ec54587
	s_delay_alu instid0(VALU_DEP_3) | instskip(SKIP_1) | instid1(VALU_DEP_4)
	v_cmp_eq_u32_e32 vcc_lo, 0, v7
	v_add_nc_u32_e32 v7, s20, v39
	v_fmaak_f32 v9, v8, v9, 0x3f93f425
	s_delay_alu instid0(VALU_DEP_1) | instskip(SKIP_2) | instid1(VALU_DEP_1)
	v_rcp_f32_e32 v9, v9
	s_waitcnt_depctr 0xfff
	v_mul_f32_e32 v9, v15, v9
	v_mul_f32_e32 v8, v8, v9
	s_delay_alu instid0(VALU_DEP_1) | instskip(NEXT) | instid1(VALU_DEP_1)
	v_fma_f32 v9, v8, v0, v0
	v_rcp_f32_e32 v15, v9
	v_sub_f32_e32 v43, v9, v0
	s_delay_alu instid0(VALU_DEP_1) | instskip(SKIP_2) | instid1(VALU_DEP_1)
	v_fma_f32 v0, v8, v0, -v43
	s_waitcnt_depctr 0xfff
	v_fma_f32 v8, v9, -v15, 1.0
	v_fma_f32 v0, v0, -v15, v8
	s_delay_alu instid0(VALU_DEP_1) | instskip(NEXT) | instid1(VALU_DEP_1)
	v_fma_f32 v0, v0, -v15, -v15
	v_cndmask_b32_e32 v0, v0, v9, vcc_lo
	v_cmp_class_f32_e64 vcc_lo, v5, 0x1f8
	s_delay_alu instid0(VALU_DEP_2) | instskip(SKIP_1) | instid1(VALU_DEP_2)
	v_xor3_b32 v0, v6, v5, v0
	v_ashrrev_i32_e32 v6, 31, v7
	v_cndmask_b32_e32 v0, 0x7fc00000, v0, vcc_lo
	v_add_co_u32 v5, vcc_lo, s12, v7
	s_delay_alu instid0(VALU_DEP_3) | instskip(NEXT) | instid1(VALU_DEP_3)
	v_add_co_ci_u32_e32 v6, vcc_lo, s13, v6, vcc_lo
	v_fma_mixlo_f16 v0, s10, v0, s9
	global_store_b16 v[5:6], v0, off
.LBB10_8:                               ;   in Loop: Header=BB10_9 Depth=1
	s_or_b32 exec_lo, exec_lo, s21
	v_add_co_u32 v12, vcc_lo, v12, s16
	v_add_co_ci_u32_e32 v13, vcc_lo, 0, v13, vcc_lo
	v_mov_b32_e32 v5, v14
	s_add_i32 s20, s20, s8
	s_waitcnt_vscnt null, 0x0
	s_delay_alu instid0(VALU_DEP_2)
	v_cmp_le_i64_e32 vcc_lo, s[6:7], v[12:13]
	s_barrier
	v_mov_b32_e32 v8, v5
	v_dual_mov_b32 v7, v4 :: v_dual_mov_b32 v6, v3
	v_mov_b32_e32 v5, v2
	s_or_b32 s3, vcc_lo, s3
	buffer_gl0_inv
	s_and_not1_b32 exec_lo, exec_lo, s3
	s_cbranch_execz .LBB10_42
.LBB10_9:                               ; =>This Inner Loop Header: Depth=1
	v_add_co_u32 v16, vcc_lo, v16, 1
	s_delay_alu instid0(VALU_DEP_1) | instskip(SKIP_1) | instid1(VALU_DEP_3)
	v_cndmask_b32_e64 v0, 0, 1, vcc_lo
	v_add_co_ci_u32_e32 v17, vcc_lo, 0, v17, vcc_lo
	v_mad_u64_u32 v[2:3], null, 0xd2511f53, v16, 0
	s_mov_b32 s0, exec_lo
	s_delay_alu instid0(VALU_DEP_2) | instskip(SKIP_1) | instid1(VALU_DEP_1)
	v_cmp_eq_u32_e32 vcc_lo, 0, v17
	v_cndmask_b32_e32 v0, 0, v0, vcc_lo
	v_add_nc_u32_e32 v36, v0, v36
	s_delay_alu instid0(VALU_DEP_1) | instskip(SKIP_2) | instid1(VALU_DEP_2)
	v_cmp_eq_u32_e32 vcc_lo, 0, v36
	v_mad_u64_u32 v[14:15], null, 0xcd9e8d57, v36, 0
	v_cndmask_b32_e32 v0, 0, v0, vcc_lo
	v_xor3_b32 v9, v15, v10, v17
	s_delay_alu instid0(VALU_DEP_2) | instskip(SKIP_1) | instid1(VALU_DEP_3)
	v_add_nc_u32_e32 v42, v0, v42
	v_xor_b32_e32 v0, v3, v11
	v_mad_u64_u32 v[3:4], null, 0xd2511f53, v9, 0
	s_delay_alu instid0(VALU_DEP_2) | instskip(NEXT) | instid1(VALU_DEP_1)
	v_xor_b32_e32 v0, v42, v0
	v_mad_u64_u32 v[43:44], null, 0xcd9e8d57, v0, 0
	s_delay_alu instid0(VALU_DEP_3) | instskip(NEXT) | instid1(VALU_DEP_2)
	v_xor3_b32 v0, v18, v4, v2
	v_xor3_b32 v2, v19, v44, v14
	s_delay_alu instid0(VALU_DEP_2) | instskip(NEXT) | instid1(VALU_DEP_2)
	v_mad_u64_u32 v[14:15], null, 0xcd9e8d57, v0, 0
	v_mad_u64_u32 v[44:45], null, 0xd2511f53, v2, 0
	s_delay_alu instid0(VALU_DEP_2) | instskip(NEXT) | instid1(VALU_DEP_2)
	v_xor3_b32 v0, v20, v15, v43
	v_xor3_b32 v4, v21, v45, v3
	s_delay_alu instid0(VALU_DEP_2) | instskip(NEXT) | instid1(VALU_DEP_2)
	v_mad_u64_u32 v[2:3], null, 0xd2511f53, v0, 0
	v_mad_u64_u32 v[45:46], null, 0xcd9e8d57, v4, 0
	s_delay_alu instid0(VALU_DEP_2) | instskip(NEXT) | instid1(VALU_DEP_2)
	;; [unrolled: 6-line block ×8, first 2 shown]
	v_xor3_b32 v9, v15, v46, v28
	v_xor3_b32 v2, v4, v44, v27
	s_delay_alu instid0(VALU_DEP_2)
	v_mov_b32_e32 v4, v9
	v_cmpx_lt_i32_e32 1, v25
	s_xor_b32 s0, exec_lo, s0
	s_cbranch_execnz .LBB10_12
; %bb.10:                               ;   in Loop: Header=BB10_9 Depth=1
	s_and_not1_saveexec_b32 s0, s0
	s_cbranch_execnz .LBB10_17
.LBB10_11:                              ;   in Loop: Header=BB10_9 Depth=1
	s_or_b32 exec_lo, exec_lo, s0
	s_delay_alu instid0(SALU_CYCLE_1)
	s_mov_b32 s21, exec_lo
	v_cmpx_gt_i64_e64 s[4:5], v[12:13]
	s_cbranch_execnz .LBB10_20
	s_branch .LBB10_25
.LBB10_12:                              ;   in Loop: Header=BB10_9 Depth=1
	s_mov_b32 s1, exec_lo
	v_cmpx_lt_i32_e32 2, v25
	s_xor_b32 s1, exec_lo, s1
; %bb.13:                               ;   in Loop: Header=BB10_9 Depth=1
	v_dual_mov_b32 v6, v8 :: v_dual_mov_b32 v7, v2
	v_mov_b32_e32 v8, v3
	s_delay_alu instid0(VALU_DEP_2) | instskip(NEXT) | instid1(VALU_DEP_3)
	v_mov_b32_e32 v5, v6
	v_mov_b32_e32 v6, v7
	s_delay_alu instid0(VALU_DEP_3)
	v_mov_b32_e32 v7, v8
	v_mov_b32_e32 v8, v9
; %bb.14:                               ;   in Loop: Header=BB10_9 Depth=1
	s_and_not1_saveexec_b32 s1, s1
; %bb.15:                               ;   in Loop: Header=BB10_9 Depth=1
	s_delay_alu instid0(VALU_DEP_1)
	v_dual_mov_b32 v5, v7 :: v_dual_mov_b32 v6, v8
	v_dual_mov_b32 v7, v2 :: v_dual_mov_b32 v8, v3
; %bb.16:                               ;   in Loop: Header=BB10_9 Depth=1
	s_or_b32 exec_lo, exec_lo, s1
	s_and_not1_saveexec_b32 s0, s0
	s_cbranch_execz .LBB10_11
.LBB10_17:                              ;   in Loop: Header=BB10_9 Depth=1
	s_mov_b32 s1, exec_lo
	v_cmpx_eq_u32_e32 1, v25
; %bb.18:                               ;   in Loop: Header=BB10_9 Depth=1
	v_dual_mov_b32 v5, v6 :: v_dual_mov_b32 v6, v7
	v_dual_mov_b32 v7, v8 :: v_dual_mov_b32 v8, v2
; %bb.19:                               ;   in Loop: Header=BB10_9 Depth=1
	s_or_b32 exec_lo, exec_lo, s1
	s_delay_alu instid0(SALU_CYCLE_1) | instskip(NEXT) | instid1(SALU_CYCLE_1)
	s_or_b32 exec_lo, exec_lo, s0
	s_mov_b32 s21, exec_lo
	v_cmpx_gt_i64_e64 s[4:5], v[12:13]
	s_cbranch_execz .LBB10_25
.LBB10_20:                              ;   in Loop: Header=BB10_9 Depth=1
	v_cvt_f32_u32_e32 v0, v5
                                        ; implicit-def: $vgpr15
	s_mov_b32 s1, exec_lo
	s_delay_alu instid0(VALU_DEP_1) | instskip(NEXT) | instid1(VALU_DEP_1)
	v_fmaak_f32 v0, 0x2f800000, v0, 0x2f800000
	v_cmp_nlt_f32_e32 vcc_lo, 0x3f7ffffe, v0
	v_cndmask_b32_e32 v0, 0x3f7ffffe, v0, vcc_lo
	s_delay_alu instid0(VALU_DEP_1) | instskip(SKIP_1) | instid1(VALU_DEP_1)
	v_cmp_ngt_f32_e32 vcc_lo, 0x34000000, v0
	v_cndmask_b32_e32 v0, 0x34000000, v0, vcc_lo
	v_add_f32_e32 v0, -0.5, v0
	s_delay_alu instid0(VALU_DEP_1) | instskip(NEXT) | instid1(VALU_DEP_1)
	v_mul_f32_e32 v5, 0x40490fdb, v0
                                        ; implicit-def: $vgpr0
	v_and_b32_e32 v9, 0x7fffffff, v5
	v_cmpx_ngt_f32_e64 0x48000000, |v5|
	s_xor_b32 s22, exec_lo, s1
	s_cbranch_execz .LBB10_22
; %bb.21:                               ;   in Loop: Header=BB10_9 Depth=1
	s_delay_alu instid0(VALU_DEP_2) | instskip(SKIP_1) | instid1(VALU_DEP_2)
	v_and_or_b32 v15, v9, s18, 0x800000
	v_lshrrev_b32_e32 v48, 23, v9
	v_mad_u64_u32 v[43:44], null, 0xfe5163ab, v15, 0
	s_delay_alu instid0(VALU_DEP_2) | instskip(NEXT) | instid1(VALU_DEP_1)
	v_add_nc_u32_e32 v49, 0xffffff88, v48
	v_cmp_lt_u32_e32 vcc_lo, 63, v49
	s_delay_alu instid0(VALU_DEP_3) | instskip(SKIP_1) | instid1(VALU_DEP_2)
	v_mov_b32_e32 v0, v44
	v_cndmask_b32_e64 v50, 0, 0xffffffc0, vcc_lo
	v_mad_u64_u32 v[44:45], null, 0x3c439041, v15, v[0:1]
	s_delay_alu instid0(VALU_DEP_2) | instskip(NEXT) | instid1(VALU_DEP_1)
	v_add_nc_u32_e32 v50, v50, v49
	v_cmp_lt_u32_e64 s0, 31, v50
	s_delay_alu instid0(VALU_DEP_1) | instskip(NEXT) | instid1(VALU_DEP_1)
	v_cndmask_b32_e64 v51, 0, 0xffffffe0, s0
	v_dual_mov_b32 v0, v45 :: v_dual_add_nc_u32 v51, v51, v50
	s_delay_alu instid0(VALU_DEP_1) | instskip(NEXT) | instid1(VALU_DEP_2)
	v_mad_u64_u32 v[45:46], null, 0xdb629599, v15, v[0:1]
	v_cmp_lt_u32_e64 s1, 31, v51
	s_delay_alu instid0(VALU_DEP_2) | instskip(NEXT) | instid1(VALU_DEP_1)
	v_dual_mov_b32 v0, v46 :: v_dual_cndmask_b32 v43, v45, v43
	v_mad_u64_u32 v[46:47], null, 0xf534ddc0, v15, v[0:1]
	s_delay_alu instid0(VALU_DEP_1) | instskip(NEXT) | instid1(VALU_DEP_2)
	v_mov_b32_e32 v0, v47
	v_cndmask_b32_e32 v44, v46, v44, vcc_lo
	s_delay_alu instid0(VALU_DEP_2) | instskip(NEXT) | instid1(VALU_DEP_2)
	v_mad_u64_u32 v[47:48], null, 0xfc2757d1, v15, v[0:1]
	v_cndmask_b32_e64 v43, v44, v43, s0
	s_delay_alu instid0(VALU_DEP_2) | instskip(NEXT) | instid1(VALU_DEP_1)
	v_mov_b32_e32 v0, v48
	v_mad_u64_u32 v[48:49], null, 0x4e441529, v15, v[0:1]
	s_delay_alu instid0(VALU_DEP_1) | instskip(NEXT) | instid1(VALU_DEP_1)
	v_mov_b32_e32 v0, v49
	v_mad_u64_u32 v[49:50], null, 0xa2f9836e, v15, v[0:1]
	v_cndmask_b32_e64 v0, 0, 0xffffffe0, s1
	s_delay_alu instid0(VALU_DEP_4) | instskip(NEXT) | instid1(VALU_DEP_2)
	v_cndmask_b32_e32 v15, v48, v46, vcc_lo
	v_add_nc_u32_e32 v0, v0, v51
	s_delay_alu instid0(VALU_DEP_4) | instskip(SKIP_1) | instid1(VALU_DEP_3)
	v_dual_cndmask_b32 v49, v49, v47 :: v_dual_cndmask_b32 v48, v50, v48
	v_cndmask_b32_e32 v47, v47, v45, vcc_lo
	v_cmp_eq_u32_e64 s2, 0, v0
	s_delay_alu instid0(VALU_DEP_3) | instskip(NEXT) | instid1(VALU_DEP_4)
	v_cndmask_b32_e64 v46, v49, v15, s0
	v_cndmask_b32_e64 v48, v48, v49, s0
	s_delay_alu instid0(VALU_DEP_4) | instskip(SKIP_2) | instid1(VALU_DEP_4)
	v_cndmask_b32_e64 v15, v15, v47, s0
	v_sub_nc_u32_e32 v49, 32, v0
	v_cndmask_b32_e64 v47, v47, v44, s0
	v_cndmask_b32_e64 v48, v48, v46, s1
	s_delay_alu instid0(VALU_DEP_4) | instskip(NEXT) | instid1(VALU_DEP_3)
	v_cndmask_b32_e64 v46, v46, v15, s1
	v_cndmask_b32_e64 v15, v15, v47, s1
	;; [unrolled: 1-line block ×3, first 2 shown]
	s_delay_alu instid0(VALU_DEP_3) | instskip(NEXT) | instid1(VALU_DEP_3)
	v_alignbit_b32 v50, v48, v46, v49
	v_alignbit_b32 v51, v46, v15, v49
	s_delay_alu instid0(VALU_DEP_3) | instskip(NEXT) | instid1(VALU_DEP_3)
	v_alignbit_b32 v49, v15, v43, v49
	v_cndmask_b32_e64 v0, v50, v48, s2
	s_delay_alu instid0(VALU_DEP_3) | instskip(NEXT) | instid1(VALU_DEP_3)
	v_cndmask_b32_e64 v45, v51, v46, s2
	v_cndmask_b32_e64 v15, v49, v15, s2
	s_delay_alu instid0(VALU_DEP_3) | instskip(NEXT) | instid1(VALU_DEP_3)
	v_bfe_u32 v46, v0, 29, 1
	v_alignbit_b32 v44, v0, v45, 30
	s_delay_alu instid0(VALU_DEP_3) | instskip(SKIP_1) | instid1(VALU_DEP_4)
	v_alignbit_b32 v45, v45, v15, 30
	v_alignbit_b32 v15, v15, v43, 30
	v_sub_nc_u32_e32 v48, 0, v46
	s_delay_alu instid0(VALU_DEP_1) | instskip(SKIP_3) | instid1(VALU_DEP_4)
	v_xor_b32_e32 v47, v44, v48
	v_cmp_ne_u32_e32 vcc_lo, v44, v48
	v_xor_b32_e32 v43, v45, v48
	v_xor_b32_e32 v15, v15, v48
	v_clz_i32_u32_e32 v50, v47
	s_delay_alu instid0(VALU_DEP_1) | instskip(NEXT) | instid1(VALU_DEP_1)
	v_add_nc_u32_e32 v49, 1, v50
	v_cndmask_b32_e32 v44, 33, v49, vcc_lo
	s_delay_alu instid0(VALU_DEP_1) | instskip(NEXT) | instid1(VALU_DEP_1)
	v_sub_nc_u32_e32 v45, 32, v44
	v_alignbit_b32 v47, v47, v43, v45
	v_alignbit_b32 v15, v43, v15, v45
	v_lshrrev_b32_e32 v43, 29, v0
	s_delay_alu instid0(VALU_DEP_2) | instskip(NEXT) | instid1(VALU_DEP_2)
	v_alignbit_b32 v45, v47, v15, 9
	v_lshlrev_b32_e32 v43, 31, v43
	v_alignbit_b32 v47, v44, v47, 9
	s_delay_alu instid0(VALU_DEP_3) | instskip(NEXT) | instid1(VALU_DEP_2)
	v_clz_i32_u32_e32 v48, v45
	v_or_b32_e32 v47, v47, v43
	v_or_b32_e32 v43, 0x33800000, v43
	s_delay_alu instid0(VALU_DEP_3) | instskip(NEXT) | instid1(VALU_DEP_3)
	v_min_u32_e32 v48, 32, v48
	v_xor_b32_e32 v47, 1.0, v47
	s_delay_alu instid0(VALU_DEP_2) | instskip(SKIP_1) | instid1(VALU_DEP_3)
	v_sub_nc_u32_e32 v49, 31, v48
	v_add_lshl_u32 v44, v48, v44, 23
	v_mul_f32_e32 v48, 0x3fc90fda, v47
	s_delay_alu instid0(VALU_DEP_3) | instskip(NEXT) | instid1(VALU_DEP_3)
	v_alignbit_b32 v15, v45, v15, v49
	v_sub_nc_u32_e32 v43, v43, v44
	s_delay_alu instid0(VALU_DEP_3) | instskip(NEXT) | instid1(VALU_DEP_3)
	v_fma_f32 v44, 0x3fc90fda, v47, -v48
	v_lshrrev_b32_e32 v15, 9, v15
	s_delay_alu instid0(VALU_DEP_2) | instskip(NEXT) | instid1(VALU_DEP_2)
	v_fmac_f32_e32 v44, 0x33a22168, v47
	v_or_b32_e32 v15, v43, v15
	s_delay_alu instid0(VALU_DEP_1) | instskip(SKIP_1) | instid1(VALU_DEP_1)
	v_fmac_f32_e32 v44, 0x3fc90fda, v15
	v_lshrrev_b32_e32 v15, 30, v0
	v_dual_add_f32 v0, v48, v44 :: v_dual_add_nc_u32 v15, v46, v15
.LBB10_22:                              ;   in Loop: Header=BB10_9 Depth=1
	s_and_not1_saveexec_b32 s0, s22
; %bb.23:                               ;   in Loop: Header=BB10_9 Depth=1
	v_mul_f32_e64 v0, 0x3f22f983, |v5|
	s_delay_alu instid0(VALU_DEP_1) | instskip(NEXT) | instid1(VALU_DEP_1)
	v_rndne_f32_e32 v15, v0
	v_fma_f32 v0, 0xbfc90fda, v15, |v5|
	s_delay_alu instid0(VALU_DEP_1) | instskip(NEXT) | instid1(VALU_DEP_1)
	v_fmac_f32_e32 v0, 0xb3a22168, v15
	v_fmac_f32_e32 v0, 0xa7c234c4, v15
	v_cvt_i32_f32_e32 v15, v15
; %bb.24:                               ;   in Loop: Header=BB10_9 Depth=1
	s_or_b32 exec_lo, exec_lo, s0
	s_delay_alu instid0(VALU_DEP_2) | instskip(NEXT) | instid1(VALU_DEP_2)
	v_mul_f32_e32 v43, v0, v0
	v_and_b32_e32 v15, 1, v15
	s_delay_alu instid0(VALU_DEP_2) | instskip(SKIP_1) | instid1(VALU_DEP_3)
	v_fmaak_f32 v44, s19, v43, 0xbf039337
	v_fmaak_f32 v45, s15, v43, 0x3ec54587
	v_cmp_eq_u32_e32 vcc_lo, 0, v15
	s_delay_alu instid0(VALU_DEP_3) | instskip(NEXT) | instid1(VALU_DEP_1)
	v_dual_fmaak_f32 v44, v43, v44, 0x3f93f425 :: v_dual_add_nc_u32 v15, s20, v38
	v_rcp_f32_e32 v44, v44
	s_waitcnt_depctr 0xfff
	v_mul_f32_e32 v44, v45, v44
	s_delay_alu instid0(VALU_DEP_1) | instskip(NEXT) | instid1(VALU_DEP_1)
	v_mul_f32_e32 v43, v43, v44
	v_fma_f32 v44, v43, v0, v0
	s_delay_alu instid0(VALU_DEP_1) | instskip(SKIP_1) | instid1(VALU_DEP_1)
	v_rcp_f32_e32 v45, v44
	v_sub_f32_e32 v46, v44, v0
	v_fma_f32 v0, v43, v0, -v46
	s_waitcnt_depctr 0xfff
	v_fma_f32 v43, v44, -v45, 1.0
	s_delay_alu instid0(VALU_DEP_1) | instskip(NEXT) | instid1(VALU_DEP_1)
	v_fma_f32 v0, v0, -v45, v43
	v_fma_f32 v0, v0, -v45, -v45
	s_delay_alu instid0(VALU_DEP_1) | instskip(SKIP_1) | instid1(VALU_DEP_2)
	v_cndmask_b32_e32 v0, v0, v44, vcc_lo
	v_cmp_class_f32_e64 vcc_lo, v5, 0x1f8
	v_xor3_b32 v0, v9, v5, v0
	v_ashrrev_i32_e32 v9, 31, v15
	s_delay_alu instid0(VALU_DEP_2) | instskip(SKIP_1) | instid1(VALU_DEP_3)
	v_cndmask_b32_e32 v0, 0x7fc00000, v0, vcc_lo
	v_add_co_u32 v43, vcc_lo, s12, v15
	v_add_co_ci_u32_e32 v44, vcc_lo, s13, v9, vcc_lo
	s_delay_alu instid0(VALU_DEP_3)
	v_fma_mixlo_f16 v0, s10, v0, s9
	global_store_b16 v[43:44], v0, off
.LBB10_25:                              ;   in Loop: Header=BB10_9 Depth=1
	s_or_b32 exec_lo, exec_lo, s21
	v_add_co_u32 v43, vcc_lo, s14, v12
	v_add_co_ci_u32_e32 v44, vcc_lo, 0, v13, vcc_lo
	s_mov_b32 s21, exec_lo
	s_delay_alu instid0(VALU_DEP_1)
	v_cmpx_gt_i64_e64 s[4:5], v[43:44]
	s_cbranch_execz .LBB10_31
; %bb.26:                               ;   in Loop: Header=BB10_9 Depth=1
	v_cvt_f32_u32_e32 v0, v6
                                        ; implicit-def: $vgpr9
	s_mov_b32 s1, exec_lo
	s_delay_alu instid0(VALU_DEP_1) | instskip(NEXT) | instid1(VALU_DEP_1)
	v_fmaak_f32 v0, 0x2f800000, v0, 0x2f800000
	v_cmp_nlt_f32_e32 vcc_lo, 0x3f7ffffe, v0
	v_cndmask_b32_e32 v0, 0x3f7ffffe, v0, vcc_lo
	s_delay_alu instid0(VALU_DEP_1) | instskip(SKIP_1) | instid1(VALU_DEP_1)
	v_cmp_ngt_f32_e32 vcc_lo, 0x34000000, v0
	v_cndmask_b32_e32 v0, 0x34000000, v0, vcc_lo
	v_add_f32_e32 v0, -0.5, v0
	s_delay_alu instid0(VALU_DEP_1) | instskip(NEXT) | instid1(VALU_DEP_1)
	v_mul_f32_e32 v5, 0x40490fdb, v0
                                        ; implicit-def: $vgpr0
	v_and_b32_e32 v6, 0x7fffffff, v5
	v_cmpx_ngt_f32_e64 0x48000000, |v5|
	s_xor_b32 s22, exec_lo, s1
	s_cbranch_execz .LBB10_28
; %bb.27:                               ;   in Loop: Header=BB10_9 Depth=1
	s_delay_alu instid0(VALU_DEP_2) | instskip(SKIP_1) | instid1(VALU_DEP_2)
	v_and_or_b32 v9, v6, s18, 0x800000
	v_lshrrev_b32_e32 v15, 23, v6
	v_mad_u64_u32 v[43:44], null, 0xfe5163ab, v9, 0
	s_delay_alu instid0(VALU_DEP_2) | instskip(NEXT) | instid1(VALU_DEP_1)
	v_add_nc_u32_e32 v15, 0xffffff88, v15
	v_cmp_lt_u32_e32 vcc_lo, 63, v15
	s_delay_alu instid0(VALU_DEP_3) | instskip(SKIP_1) | instid1(VALU_DEP_2)
	v_mov_b32_e32 v0, v44
	v_cndmask_b32_e64 v49, 0, 0xffffffc0, vcc_lo
	v_mad_u64_u32 v[44:45], null, 0x3c439041, v9, v[0:1]
	s_delay_alu instid0(VALU_DEP_2) | instskip(NEXT) | instid1(VALU_DEP_1)
	v_add_nc_u32_e32 v15, v49, v15
	v_cmp_lt_u32_e64 s0, 31, v15
	s_delay_alu instid0(VALU_DEP_1) | instskip(NEXT) | instid1(VALU_DEP_1)
	v_cndmask_b32_e64 v50, 0, 0xffffffe0, s0
	v_dual_mov_b32 v0, v45 :: v_dual_add_nc_u32 v15, v50, v15
	s_delay_alu instid0(VALU_DEP_1) | instskip(NEXT) | instid1(VALU_DEP_2)
	v_mad_u64_u32 v[45:46], null, 0xdb629599, v9, v[0:1]
	v_cmp_lt_u32_e64 s1, 31, v15
	s_delay_alu instid0(VALU_DEP_2) | instskip(NEXT) | instid1(VALU_DEP_1)
	v_dual_mov_b32 v0, v46 :: v_dual_cndmask_b32 v43, v45, v43
	v_mad_u64_u32 v[46:47], null, 0xf534ddc0, v9, v[0:1]
	s_delay_alu instid0(VALU_DEP_1) | instskip(NEXT) | instid1(VALU_DEP_1)
	v_mov_b32_e32 v0, v47
	v_mad_u64_u32 v[47:48], null, 0xfc2757d1, v9, v[0:1]
	s_delay_alu instid0(VALU_DEP_1) | instskip(NEXT) | instid1(VALU_DEP_1)
	v_mov_b32_e32 v0, v48
	;; [unrolled: 3-line block ×3, first 2 shown]
	v_mad_u64_u32 v[49:50], null, 0xa2f9836e, v9, v[0:1]
	v_cndmask_b32_e64 v0, 0, 0xffffffe0, s1
	s_delay_alu instid0(VALU_DEP_4) | instskip(NEXT) | instid1(VALU_DEP_2)
	v_cndmask_b32_e32 v9, v48, v46, vcc_lo
	v_dual_cndmask_b32 v15, v46, v44 :: v_dual_add_nc_u32 v0, v0, v15
	s_delay_alu instid0(VALU_DEP_4) | instskip(SKIP_1) | instid1(VALU_DEP_3)
	v_dual_cndmask_b32 v49, v49, v47 :: v_dual_cndmask_b32 v48, v50, v48
	v_cndmask_b32_e32 v47, v47, v45, vcc_lo
	v_cmp_eq_u32_e64 s2, 0, v0
	s_delay_alu instid0(VALU_DEP_3) | instskip(NEXT) | instid1(VALU_DEP_4)
	v_cndmask_b32_e64 v44, v49, v9, s0
	v_cndmask_b32_e64 v46, v48, v49, s0
	s_delay_alu instid0(VALU_DEP_4)
	v_cndmask_b32_e64 v9, v9, v47, s0
	v_sub_nc_u32_e32 v48, 32, v0
	v_cndmask_b32_e64 v47, v47, v15, s0
	v_cndmask_b32_e64 v15, v15, v43, s0
	;; [unrolled: 1-line block ×4, first 2 shown]
	s_delay_alu instid0(VALU_DEP_4) | instskip(NEXT) | instid1(VALU_DEP_4)
	v_cndmask_b32_e64 v9, v9, v47, s1
	v_cndmask_b32_e64 v15, v47, v15, s1
	s_delay_alu instid0(VALU_DEP_3) | instskip(NEXT) | instid1(VALU_DEP_3)
	v_alignbit_b32 v49, v46, v44, v48
	v_alignbit_b32 v50, v44, v9, v48
	s_delay_alu instid0(VALU_DEP_3) | instskip(NEXT) | instid1(VALU_DEP_3)
	v_alignbit_b32 v48, v9, v15, v48
	v_cndmask_b32_e64 v0, v49, v46, s2
	s_delay_alu instid0(VALU_DEP_3) | instskip(NEXT) | instid1(VALU_DEP_3)
	v_cndmask_b32_e64 v44, v50, v44, s2
	v_cndmask_b32_e64 v9, v48, v9, s2
	s_delay_alu instid0(VALU_DEP_3) | instskip(NEXT) | instid1(VALU_DEP_3)
	v_bfe_u32 v45, v0, 29, 1
	v_alignbit_b32 v43, v0, v44, 30
	s_delay_alu instid0(VALU_DEP_3) | instskip(SKIP_1) | instid1(VALU_DEP_4)
	v_alignbit_b32 v44, v44, v9, 30
	v_alignbit_b32 v9, v9, v15, 30
	v_sub_nc_u32_e32 v46, 0, v45
	s_delay_alu instid0(VALU_DEP_1) | instskip(SKIP_3) | instid1(VALU_DEP_4)
	v_xor_b32_e32 v47, v43, v46
	v_cmp_ne_u32_e32 vcc_lo, v43, v46
	v_xor_b32_e32 v15, v44, v46
	v_xor_b32_e32 v9, v9, v46
	v_clz_i32_u32_e32 v49, v47
	s_delay_alu instid0(VALU_DEP_1) | instskip(NEXT) | instid1(VALU_DEP_1)
	v_add_nc_u32_e32 v48, 1, v49
	v_cndmask_b32_e32 v43, 33, v48, vcc_lo
	s_delay_alu instid0(VALU_DEP_1) | instskip(NEXT) | instid1(VALU_DEP_1)
	v_sub_nc_u32_e32 v44, 32, v43
	v_alignbit_b32 v46, v47, v15, v44
	v_alignbit_b32 v9, v15, v9, v44
	v_lshrrev_b32_e32 v15, 29, v0
	s_delay_alu instid0(VALU_DEP_2) | instskip(NEXT) | instid1(VALU_DEP_2)
	v_alignbit_b32 v44, v46, v9, 9
	v_lshlrev_b32_e32 v15, 31, v15
	v_alignbit_b32 v46, v43, v46, 9
	s_delay_alu instid0(VALU_DEP_3) | instskip(NEXT) | instid1(VALU_DEP_2)
	v_clz_i32_u32_e32 v47, v44
	v_or_b32_e32 v46, v46, v15
	v_or_b32_e32 v15, 0x33800000, v15
	s_delay_alu instid0(VALU_DEP_3) | instskip(NEXT) | instid1(VALU_DEP_3)
	v_min_u32_e32 v47, 32, v47
	v_xor_b32_e32 v46, 1.0, v46
	s_delay_alu instid0(VALU_DEP_2) | instskip(SKIP_1) | instid1(VALU_DEP_3)
	v_sub_nc_u32_e32 v48, 31, v47
	v_add_lshl_u32 v43, v47, v43, 23
	v_mul_f32_e32 v47, 0x3fc90fda, v46
	s_delay_alu instid0(VALU_DEP_3) | instskip(NEXT) | instid1(VALU_DEP_3)
	v_alignbit_b32 v9, v44, v9, v48
	v_sub_nc_u32_e32 v15, v15, v43
	s_delay_alu instid0(VALU_DEP_3) | instskip(NEXT) | instid1(VALU_DEP_3)
	v_fma_f32 v43, 0x3fc90fda, v46, -v47
	v_lshrrev_b32_e32 v9, 9, v9
	s_delay_alu instid0(VALU_DEP_2) | instskip(NEXT) | instid1(VALU_DEP_2)
	v_fmac_f32_e32 v43, 0x33a22168, v46
	v_or_b32_e32 v9, v15, v9
	s_delay_alu instid0(VALU_DEP_1) | instskip(SKIP_1) | instid1(VALU_DEP_1)
	v_fmac_f32_e32 v43, 0x3fc90fda, v9
	v_lshrrev_b32_e32 v9, 30, v0
	v_dual_add_f32 v0, v47, v43 :: v_dual_add_nc_u32 v9, v45, v9
.LBB10_28:                              ;   in Loop: Header=BB10_9 Depth=1
	s_and_not1_saveexec_b32 s0, s22
; %bb.29:                               ;   in Loop: Header=BB10_9 Depth=1
	v_mul_f32_e64 v0, 0x3f22f983, |v5|
	s_delay_alu instid0(VALU_DEP_1) | instskip(NEXT) | instid1(VALU_DEP_1)
	v_rndne_f32_e32 v9, v0
	v_fma_f32 v0, 0xbfc90fda, v9, |v5|
	s_delay_alu instid0(VALU_DEP_1) | instskip(NEXT) | instid1(VALU_DEP_1)
	v_fmac_f32_e32 v0, 0xb3a22168, v9
	v_fmac_f32_e32 v0, 0xa7c234c4, v9
	v_cvt_i32_f32_e32 v9, v9
; %bb.30:                               ;   in Loop: Header=BB10_9 Depth=1
	s_or_b32 exec_lo, exec_lo, s0
	s_delay_alu instid0(VALU_DEP_2) | instskip(NEXT) | instid1(VALU_DEP_1)
	v_mul_f32_e32 v15, v0, v0
	v_fmaak_f32 v43, s19, v15, 0xbf039337
	v_fmaak_f32 v44, s15, v15, 0x3ec54587
	s_delay_alu instid0(VALU_DEP_2) | instskip(NEXT) | instid1(VALU_DEP_1)
	v_fmaak_f32 v43, v15, v43, 0x3f93f425
	v_rcp_f32_e32 v43, v43
	s_waitcnt_depctr 0xfff
	v_mul_f32_e32 v43, v44, v43
	s_delay_alu instid0(VALU_DEP_1) | instskip(NEXT) | instid1(VALU_DEP_1)
	v_mul_f32_e32 v15, v15, v43
	v_fma_f32 v43, v15, v0, v0
	s_delay_alu instid0(VALU_DEP_1) | instskip(SKIP_1) | instid1(VALU_DEP_1)
	v_rcp_f32_e32 v44, v43
	v_sub_f32_e32 v45, v43, v0
	v_fma_f32 v0, v15, v0, -v45
	s_waitcnt_depctr 0xfff
	v_fma_f32 v15, v43, -v44, 1.0
	s_delay_alu instid0(VALU_DEP_1) | instskip(NEXT) | instid1(VALU_DEP_1)
	v_fma_f32 v0, v0, -v44, v15
	v_fma_f32 v0, v0, -v44, -v44
	v_and_b32_e32 v9, 1, v9
	s_delay_alu instid0(VALU_DEP_1) | instskip(NEXT) | instid1(VALU_DEP_3)
	v_cmp_eq_u32_e32 vcc_lo, 0, v9
	v_dual_cndmask_b32 v0, v0, v43 :: v_dual_add_nc_u32 v9, s20, v41
	v_cmp_class_f32_e64 vcc_lo, v5, 0x1f8
	s_delay_alu instid0(VALU_DEP_2) | instskip(NEXT) | instid1(VALU_DEP_3)
	v_xor3_b32 v0, v6, v5, v0
	v_ashrrev_i32_e32 v6, 31, v9
	s_delay_alu instid0(VALU_DEP_2) | instskip(SKIP_1) | instid1(VALU_DEP_3)
	v_cndmask_b32_e32 v0, 0x7fc00000, v0, vcc_lo
	v_add_co_u32 v5, vcc_lo, s12, v9
	v_add_co_ci_u32_e32 v6, vcc_lo, s13, v6, vcc_lo
	s_delay_alu instid0(VALU_DEP_3)
	v_fma_mixlo_f16 v0, s10, v0, s9
	global_store_b16 v[5:6], v0, off
.LBB10_31:                              ;   in Loop: Header=BB10_9 Depth=1
	s_or_b32 exec_lo, exec_lo, s21
	v_add_co_u32 v5, vcc_lo, s11, v12
	v_add_co_ci_u32_e32 v6, vcc_lo, 0, v13, vcc_lo
	s_mov_b32 s21, exec_lo
	s_delay_alu instid0(VALU_DEP_1)
	v_cmpx_gt_i64_e64 s[4:5], v[5:6]
	s_cbranch_execz .LBB10_37
; %bb.32:                               ;   in Loop: Header=BB10_9 Depth=1
	v_cvt_f32_u32_e32 v0, v7
                                        ; implicit-def: $vgpr7
	s_mov_b32 s1, exec_lo
	s_delay_alu instid0(VALU_DEP_1) | instskip(NEXT) | instid1(VALU_DEP_1)
	v_fmaak_f32 v0, 0x2f800000, v0, 0x2f800000
	v_cmp_nlt_f32_e32 vcc_lo, 0x3f7ffffe, v0
	v_cndmask_b32_e32 v0, 0x3f7ffffe, v0, vcc_lo
	s_delay_alu instid0(VALU_DEP_1) | instskip(SKIP_1) | instid1(VALU_DEP_1)
	v_cmp_ngt_f32_e32 vcc_lo, 0x34000000, v0
	v_cndmask_b32_e32 v0, 0x34000000, v0, vcc_lo
	v_add_f32_e32 v0, -0.5, v0
	s_delay_alu instid0(VALU_DEP_1) | instskip(NEXT) | instid1(VALU_DEP_1)
	v_mul_f32_e32 v5, 0x40490fdb, v0
                                        ; implicit-def: $vgpr0
	v_and_b32_e32 v6, 0x7fffffff, v5
	v_cmpx_ngt_f32_e64 0x48000000, |v5|
	s_xor_b32 s22, exec_lo, s1
	s_cbranch_execz .LBB10_34
; %bb.33:                               ;   in Loop: Header=BB10_9 Depth=1
	s_delay_alu instid0(VALU_DEP_2) | instskip(SKIP_1) | instid1(VALU_DEP_2)
	v_and_or_b32 v7, v6, s18, 0x800000
	v_lshrrev_b32_e32 v9, 23, v6
	v_mad_u64_u32 v[43:44], null, 0xfe5163ab, v7, 0
	s_delay_alu instid0(VALU_DEP_2) | instskip(NEXT) | instid1(VALU_DEP_1)
	v_add_nc_u32_e32 v9, 0xffffff88, v9
	v_cmp_lt_u32_e32 vcc_lo, 63, v9
	s_delay_alu instid0(VALU_DEP_3) | instskip(SKIP_1) | instid1(VALU_DEP_2)
	v_mov_b32_e32 v0, v44
	v_cndmask_b32_e64 v15, 0, 0xffffffc0, vcc_lo
	v_mad_u64_u32 v[44:45], null, 0x3c439041, v7, v[0:1]
	s_delay_alu instid0(VALU_DEP_1) | instskip(NEXT) | instid1(VALU_DEP_1)
	v_dual_mov_b32 v0, v45 :: v_dual_add_nc_u32 v9, v15, v9
	v_cmp_lt_u32_e64 s0, 31, v9
	s_delay_alu instid0(VALU_DEP_2) | instskip(NEXT) | instid1(VALU_DEP_2)
	v_mad_u64_u32 v[45:46], null, 0xdb629599, v7, v[0:1]
	v_cndmask_b32_e64 v15, 0, 0xffffffe0, s0
	s_delay_alu instid0(VALU_DEP_1) | instskip(NEXT) | instid1(VALU_DEP_1)
	v_dual_mov_b32 v0, v46 :: v_dual_add_nc_u32 v9, v15, v9
	v_cmp_lt_u32_e64 s1, 31, v9
	s_delay_alu instid0(VALU_DEP_2) | instskip(NEXT) | instid1(VALU_DEP_1)
	v_mad_u64_u32 v[46:47], null, 0xf534ddc0, v7, v[0:1]
	v_mov_b32_e32 v0, v47
	s_delay_alu instid0(VALU_DEP_1) | instskip(NEXT) | instid1(VALU_DEP_1)
	v_mad_u64_u32 v[47:48], null, 0xfc2757d1, v7, v[0:1]
	v_mov_b32_e32 v0, v48
	s_delay_alu instid0(VALU_DEP_1) | instskip(NEXT) | instid1(VALU_DEP_1)
	v_mad_u64_u32 v[48:49], null, 0x4e441529, v7, v[0:1]
	v_mov_b32_e32 v0, v49
	s_delay_alu instid0(VALU_DEP_1) | instskip(SKIP_1) | instid1(VALU_DEP_4)
	v_mad_u64_u32 v[49:50], null, 0xa2f9836e, v7, v[0:1]
	v_cndmask_b32_e64 v0, 0, 0xffffffe0, s1
	v_cndmask_b32_e32 v7, v48, v46, vcc_lo
	s_delay_alu instid0(VALU_DEP_2) | instskip(NEXT) | instid1(VALU_DEP_4)
	v_dual_cndmask_b32 v9, v46, v44 :: v_dual_add_nc_u32 v0, v0, v9
	v_dual_cndmask_b32 v15, v49, v47 :: v_dual_cndmask_b32 v48, v50, v48
	v_cndmask_b32_e32 v47, v47, v45, vcc_lo
	s_delay_alu instid0(VALU_DEP_3) | instskip(SKIP_1) | instid1(VALU_DEP_4)
	v_sub_nc_u32_e32 v46, 32, v0
	v_cmp_eq_u32_e64 s2, 0, v0
	v_cndmask_b32_e64 v44, v15, v7, s0
	v_cndmask_b32_e64 v15, v48, v15, s0
	;; [unrolled: 1-line block ×4, first 2 shown]
	s_delay_alu instid0(VALU_DEP_3) | instskip(NEXT) | instid1(VALU_DEP_3)
	v_cndmask_b32_e64 v15, v15, v44, s1
	v_cndmask_b32_e64 v44, v44, v7, s1
	s_delay_alu instid0(VALU_DEP_3) | instskip(NEXT) | instid1(VALU_DEP_2)
	v_cndmask_b32_e64 v7, v7, v47, s1
	v_alignbit_b32 v48, v15, v44, v46
	s_delay_alu instid0(VALU_DEP_2) | instskip(NEXT) | instid1(VALU_DEP_2)
	v_alignbit_b32 v49, v44, v7, v46
	v_cndmask_b32_e64 v0, v48, v15, s2
	v_cndmask_b32_e32 v15, v45, v43, vcc_lo
	s_delay_alu instid0(VALU_DEP_3) | instskip(NEXT) | instid1(VALU_DEP_3)
	v_cndmask_b32_e64 v43, v49, v44, s2
	v_bfe_u32 v44, v0, 29, 1
	s_delay_alu instid0(VALU_DEP_3) | instskip(NEXT) | instid1(VALU_DEP_3)
	v_cndmask_b32_e64 v9, v9, v15, s0
	v_alignbit_b32 v15, v0, v43, 30
	s_delay_alu instid0(VALU_DEP_3) | instskip(NEXT) | instid1(VALU_DEP_3)
	v_sub_nc_u32_e32 v45, 0, v44
	v_cndmask_b32_e64 v9, v47, v9, s1
	s_delay_alu instid0(VALU_DEP_2) | instskip(NEXT) | instid1(VALU_DEP_2)
	v_xor_b32_e32 v47, v15, v45
	v_alignbit_b32 v46, v7, v9, v46
	v_cmp_ne_u32_e32 vcc_lo, v15, v45
	s_delay_alu instid0(VALU_DEP_3) | instskip(NEXT) | instid1(VALU_DEP_3)
	v_clz_i32_u32_e32 v48, v47
	v_cndmask_b32_e64 v7, v46, v7, s2
	s_delay_alu instid0(VALU_DEP_2) | instskip(NEXT) | instid1(VALU_DEP_2)
	v_add_nc_u32_e32 v46, 1, v48
	v_alignbit_b32 v43, v43, v7, 30
	v_alignbit_b32 v7, v7, v9, 30
	s_delay_alu instid0(VALU_DEP_3) | instskip(NEXT) | instid1(VALU_DEP_3)
	v_cndmask_b32_e32 v15, 33, v46, vcc_lo
	v_xor_b32_e32 v9, v43, v45
	s_delay_alu instid0(VALU_DEP_3) | instskip(NEXT) | instid1(VALU_DEP_3)
	v_xor_b32_e32 v7, v7, v45
	v_sub_nc_u32_e32 v43, 32, v15
	s_delay_alu instid0(VALU_DEP_1) | instskip(NEXT) | instid1(VALU_DEP_3)
	v_alignbit_b32 v45, v47, v9, v43
	v_alignbit_b32 v7, v9, v7, v43
	v_lshrrev_b32_e32 v9, 29, v0
	s_delay_alu instid0(VALU_DEP_2) | instskip(NEXT) | instid1(VALU_DEP_2)
	v_alignbit_b32 v43, v45, v7, 9
	v_lshlrev_b32_e32 v9, 31, v9
	v_alignbit_b32 v45, v15, v45, 9
	s_delay_alu instid0(VALU_DEP_3) | instskip(NEXT) | instid1(VALU_DEP_2)
	v_clz_i32_u32_e32 v46, v43
	v_or_b32_e32 v45, v45, v9
	v_or_b32_e32 v9, 0x33800000, v9
	s_delay_alu instid0(VALU_DEP_3) | instskip(NEXT) | instid1(VALU_DEP_3)
	v_min_u32_e32 v46, 32, v46
	v_xor_b32_e32 v45, 1.0, v45
	s_delay_alu instid0(VALU_DEP_2) | instskip(SKIP_1) | instid1(VALU_DEP_3)
	v_sub_nc_u32_e32 v47, 31, v46
	v_add_lshl_u32 v15, v46, v15, 23
	v_mul_f32_e32 v46, 0x3fc90fda, v45
	s_delay_alu instid0(VALU_DEP_3) | instskip(NEXT) | instid1(VALU_DEP_3)
	v_alignbit_b32 v7, v43, v7, v47
	v_sub_nc_u32_e32 v9, v9, v15
	s_delay_alu instid0(VALU_DEP_3) | instskip(NEXT) | instid1(VALU_DEP_3)
	v_fma_f32 v15, 0x3fc90fda, v45, -v46
	v_lshrrev_b32_e32 v7, 9, v7
	s_delay_alu instid0(VALU_DEP_2) | instskip(NEXT) | instid1(VALU_DEP_2)
	v_fmac_f32_e32 v15, 0x33a22168, v45
	v_or_b32_e32 v7, v9, v7
	s_delay_alu instid0(VALU_DEP_1) | instskip(SKIP_1) | instid1(VALU_DEP_2)
	v_fmac_f32_e32 v15, 0x3fc90fda, v7
	v_lshrrev_b32_e32 v7, 30, v0
	v_add_f32_e32 v0, v46, v15
	s_delay_alu instid0(VALU_DEP_2)
	v_add_nc_u32_e32 v7, v44, v7
.LBB10_34:                              ;   in Loop: Header=BB10_9 Depth=1
	s_and_not1_saveexec_b32 s0, s22
; %bb.35:                               ;   in Loop: Header=BB10_9 Depth=1
	v_mul_f32_e64 v0, 0x3f22f983, |v5|
	s_delay_alu instid0(VALU_DEP_1) | instskip(NEXT) | instid1(VALU_DEP_1)
	v_rndne_f32_e32 v7, v0
	v_fma_f32 v0, 0xbfc90fda, v7, |v5|
	s_delay_alu instid0(VALU_DEP_1) | instskip(NEXT) | instid1(VALU_DEP_1)
	v_fmac_f32_e32 v0, 0xb3a22168, v7
	v_fmac_f32_e32 v0, 0xa7c234c4, v7
	v_cvt_i32_f32_e32 v7, v7
; %bb.36:                               ;   in Loop: Header=BB10_9 Depth=1
	s_or_b32 exec_lo, exec_lo, s0
	s_delay_alu instid0(VALU_DEP_2) | instskip(NEXT) | instid1(VALU_DEP_2)
	v_mul_f32_e32 v9, v0, v0
	v_and_b32_e32 v7, 1, v7
	s_delay_alu instid0(VALU_DEP_2) | instskip(SKIP_1) | instid1(VALU_DEP_3)
	v_fmaak_f32 v15, s19, v9, 0xbf039337
	v_fmaak_f32 v43, s15, v9, 0x3ec54587
	v_cmp_eq_u32_e32 vcc_lo, 0, v7
	v_add_nc_u32_e32 v7, s20, v40
	s_delay_alu instid0(VALU_DEP_4) | instskip(NEXT) | instid1(VALU_DEP_1)
	v_fmaak_f32 v15, v9, v15, 0x3f93f425
	v_rcp_f32_e32 v15, v15
	s_waitcnt_depctr 0xfff
	v_mul_f32_e32 v15, v43, v15
	s_delay_alu instid0(VALU_DEP_1) | instskip(NEXT) | instid1(VALU_DEP_1)
	v_mul_f32_e32 v9, v9, v15
	v_fma_f32 v15, v9, v0, v0
	s_delay_alu instid0(VALU_DEP_1) | instskip(SKIP_1) | instid1(VALU_DEP_1)
	v_rcp_f32_e32 v43, v15
	v_sub_f32_e32 v44, v15, v0
	v_fma_f32 v0, v9, v0, -v44
	s_waitcnt_depctr 0xfff
	v_fma_f32 v9, v15, -v43, 1.0
	s_delay_alu instid0(VALU_DEP_1) | instskip(NEXT) | instid1(VALU_DEP_1)
	v_fma_f32 v0, v0, -v43, v9
	v_fma_f32 v0, v0, -v43, -v43
	s_delay_alu instid0(VALU_DEP_1) | instskip(SKIP_1) | instid1(VALU_DEP_2)
	v_cndmask_b32_e32 v0, v0, v15, vcc_lo
	v_cmp_class_f32_e64 vcc_lo, v5, 0x1f8
	v_xor3_b32 v0, v6, v5, v0
	v_ashrrev_i32_e32 v6, 31, v7
	s_delay_alu instid0(VALU_DEP_2) | instskip(SKIP_1) | instid1(VALU_DEP_3)
	v_cndmask_b32_e32 v0, 0x7fc00000, v0, vcc_lo
	v_add_co_u32 v5, vcc_lo, s12, v7
	v_add_co_ci_u32_e32 v6, vcc_lo, s13, v6, vcc_lo
	s_delay_alu instid0(VALU_DEP_3)
	v_fma_mixlo_f16 v0, s10, v0, s9
	global_store_b16 v[5:6], v0, off
.LBB10_37:                              ;   in Loop: Header=BB10_9 Depth=1
	s_or_b32 exec_lo, exec_lo, s21
	v_add_co_u32 v5, vcc_lo, s17, v12
	v_add_co_ci_u32_e32 v6, vcc_lo, 0, v13, vcc_lo
	s_mov_b32 s21, exec_lo
	s_delay_alu instid0(VALU_DEP_1)
	v_cmpx_gt_i64_e64 s[4:5], v[5:6]
	s_cbranch_execz .LBB10_8
; %bb.38:                               ;   in Loop: Header=BB10_9 Depth=1
	v_cvt_f32_u32_e32 v0, v8
                                        ; implicit-def: $vgpr7
	s_mov_b32 s1, exec_lo
	s_delay_alu instid0(VALU_DEP_1) | instskip(NEXT) | instid1(VALU_DEP_1)
	v_fmaak_f32 v0, 0x2f800000, v0, 0x2f800000
	v_cmp_nlt_f32_e32 vcc_lo, 0x3f7ffffe, v0
	v_cndmask_b32_e32 v0, 0x3f7ffffe, v0, vcc_lo
	s_delay_alu instid0(VALU_DEP_1) | instskip(SKIP_1) | instid1(VALU_DEP_1)
	v_cmp_ngt_f32_e32 vcc_lo, 0x34000000, v0
	v_cndmask_b32_e32 v0, 0x34000000, v0, vcc_lo
	v_add_f32_e32 v0, -0.5, v0
	s_delay_alu instid0(VALU_DEP_1) | instskip(NEXT) | instid1(VALU_DEP_1)
	v_mul_f32_e32 v5, 0x40490fdb, v0
                                        ; implicit-def: $vgpr0
	v_and_b32_e32 v6, 0x7fffffff, v5
	v_cmpx_ngt_f32_e64 0x48000000, |v5|
	s_xor_b32 s22, exec_lo, s1
	s_cbranch_execz .LBB10_40
; %bb.39:                               ;   in Loop: Header=BB10_9 Depth=1
	s_delay_alu instid0(VALU_DEP_2) | instskip(NEXT) | instid1(VALU_DEP_1)
	v_and_or_b32 v15, v6, s18, 0x800000
	v_mad_u64_u32 v[7:8], null, 0xfe5163ab, v15, 0
	s_delay_alu instid0(VALU_DEP_1) | instskip(NEXT) | instid1(VALU_DEP_1)
	v_mov_b32_e32 v0, v8
	v_mad_u64_u32 v[8:9], null, 0x3c439041, v15, v[0:1]
	s_delay_alu instid0(VALU_DEP_1) | instskip(SKIP_1) | instid1(VALU_DEP_1)
	v_mov_b32_e32 v0, v9
	v_lshrrev_b32_e32 v9, 23, v6
	v_add_nc_u32_e32 v9, 0xffffff88, v9
	s_delay_alu instid0(VALU_DEP_1) | instskip(SKIP_1) | instid1(VALU_DEP_1)
	v_cmp_lt_u32_e32 vcc_lo, 63, v9
	v_cndmask_b32_e64 v47, 0, 0xffffffc0, vcc_lo
	v_add_nc_u32_e32 v9, v47, v9
	v_mad_u64_u32 v[43:44], null, 0xdb629599, v15, v[0:1]
	s_delay_alu instid0(VALU_DEP_2) | instskip(NEXT) | instid1(VALU_DEP_2)
	v_cmp_lt_u32_e64 s0, 31, v9
	v_mov_b32_e32 v0, v44
	s_delay_alu instid0(VALU_DEP_2) | instskip(NEXT) | instid1(VALU_DEP_4)
	v_cndmask_b32_e64 v48, 0, 0xffffffe0, s0
	v_cndmask_b32_e32 v7, v43, v7, vcc_lo
	s_delay_alu instid0(VALU_DEP_3) | instskip(NEXT) | instid1(VALU_DEP_3)
	v_mad_u64_u32 v[44:45], null, 0xf534ddc0, v15, v[0:1]
	v_add_nc_u32_e32 v9, v48, v9
	s_delay_alu instid0(VALU_DEP_1) | instskip(NEXT) | instid1(VALU_DEP_3)
	v_cmp_lt_u32_e64 s1, 31, v9
	v_mov_b32_e32 v0, v45
	s_delay_alu instid0(VALU_DEP_4) | instskip(NEXT) | instid1(VALU_DEP_2)
	v_cndmask_b32_e32 v8, v44, v8, vcc_lo
	v_mad_u64_u32 v[45:46], null, 0xfc2757d1, v15, v[0:1]
	s_delay_alu instid0(VALU_DEP_2) | instskip(NEXT) | instid1(VALU_DEP_2)
	v_cndmask_b32_e64 v7, v8, v7, s0
	v_mov_b32_e32 v0, v46
	s_delay_alu instid0(VALU_DEP_1) | instskip(NEXT) | instid1(VALU_DEP_1)
	v_mad_u64_u32 v[46:47], null, 0x4e441529, v15, v[0:1]
	v_mov_b32_e32 v0, v47
	s_delay_alu instid0(VALU_DEP_1) | instskip(SKIP_1) | instid1(VALU_DEP_1)
	v_mad_u64_u32 v[47:48], null, 0xa2f9836e, v15, v[0:1]
	v_cndmask_b32_e64 v0, 0, 0xffffffe0, s1
	v_dual_cndmask_b32 v15, v46, v44 :: v_dual_add_nc_u32 v0, v0, v9
	s_delay_alu instid0(VALU_DEP_3) | instskip(SKIP_1) | instid1(VALU_DEP_3)
	v_dual_cndmask_b32 v47, v47, v45 :: v_dual_cndmask_b32 v46, v48, v46
	v_cndmask_b32_e32 v45, v45, v43, vcc_lo
	v_cmp_eq_u32_e64 s2, 0, v0
	s_delay_alu instid0(VALU_DEP_3) | instskip(NEXT) | instid1(VALU_DEP_4)
	v_cndmask_b32_e64 v9, v47, v15, s0
	v_cndmask_b32_e64 v44, v46, v47, s0
	s_delay_alu instid0(VALU_DEP_4) | instskip(SKIP_2) | instid1(VALU_DEP_4)
	v_cndmask_b32_e64 v15, v15, v45, s0
	v_sub_nc_u32_e32 v46, 32, v0
	v_cndmask_b32_e64 v45, v45, v8, s0
	v_cndmask_b32_e64 v44, v44, v9, s1
	s_delay_alu instid0(VALU_DEP_4) | instskip(NEXT) | instid1(VALU_DEP_3)
	v_cndmask_b32_e64 v9, v9, v15, s1
	v_cndmask_b32_e64 v15, v15, v45, s1
	;; [unrolled: 1-line block ×3, first 2 shown]
	s_delay_alu instid0(VALU_DEP_3) | instskip(NEXT) | instid1(VALU_DEP_3)
	v_alignbit_b32 v47, v44, v9, v46
	v_alignbit_b32 v48, v9, v15, v46
	s_delay_alu instid0(VALU_DEP_3) | instskip(NEXT) | instid1(VALU_DEP_3)
	v_alignbit_b32 v46, v15, v7, v46
	v_cndmask_b32_e64 v0, v47, v44, s2
	s_delay_alu instid0(VALU_DEP_3) | instskip(NEXT) | instid1(VALU_DEP_3)
	v_cndmask_b32_e64 v9, v48, v9, s2
	v_cndmask_b32_e64 v15, v46, v15, s2
	s_delay_alu instid0(VALU_DEP_3) | instskip(NEXT) | instid1(VALU_DEP_3)
	v_bfe_u32 v43, v0, 29, 1
	v_alignbit_b32 v8, v0, v9, 30
	s_delay_alu instid0(VALU_DEP_3) | instskip(SKIP_1) | instid1(VALU_DEP_4)
	v_alignbit_b32 v9, v9, v15, 30
	v_alignbit_b32 v7, v15, v7, 30
	v_sub_nc_u32_e32 v44, 0, v43
	s_delay_alu instid0(VALU_DEP_1) | instskip(SKIP_3) | instid1(VALU_DEP_4)
	v_xor_b32_e32 v45, v8, v44
	v_cmp_ne_u32_e32 vcc_lo, v8, v44
	v_xor_b32_e32 v9, v9, v44
	v_xor_b32_e32 v7, v7, v44
	v_clz_i32_u32_e32 v47, v45
	s_delay_alu instid0(VALU_DEP_1) | instskip(NEXT) | instid1(VALU_DEP_1)
	v_add_nc_u32_e32 v46, 1, v47
	v_cndmask_b32_e32 v8, 33, v46, vcc_lo
	s_delay_alu instid0(VALU_DEP_1) | instskip(NEXT) | instid1(VALU_DEP_1)
	v_sub_nc_u32_e32 v15, 32, v8
	v_alignbit_b32 v44, v45, v9, v15
	v_alignbit_b32 v7, v9, v7, v15
	v_lshrrev_b32_e32 v9, 29, v0
	s_delay_alu instid0(VALU_DEP_2) | instskip(NEXT) | instid1(VALU_DEP_2)
	v_alignbit_b32 v15, v44, v7, 9
	v_lshlrev_b32_e32 v9, 31, v9
	v_alignbit_b32 v44, v8, v44, 9
	s_delay_alu instid0(VALU_DEP_3) | instskip(NEXT) | instid1(VALU_DEP_2)
	v_clz_i32_u32_e32 v45, v15
	v_or_b32_e32 v44, v44, v9
	v_or_b32_e32 v9, 0x33800000, v9
	s_delay_alu instid0(VALU_DEP_3) | instskip(NEXT) | instid1(VALU_DEP_3)
	v_min_u32_e32 v45, 32, v45
	v_xor_b32_e32 v44, 1.0, v44
	s_delay_alu instid0(VALU_DEP_2) | instskip(SKIP_1) | instid1(VALU_DEP_3)
	v_sub_nc_u32_e32 v46, 31, v45
	v_add_lshl_u32 v8, v45, v8, 23
	v_mul_f32_e32 v45, 0x3fc90fda, v44
	s_delay_alu instid0(VALU_DEP_3) | instskip(NEXT) | instid1(VALU_DEP_3)
	v_alignbit_b32 v7, v15, v7, v46
	v_sub_nc_u32_e32 v8, v9, v8
	s_delay_alu instid0(VALU_DEP_3) | instskip(NEXT) | instid1(VALU_DEP_3)
	v_fma_f32 v9, 0x3fc90fda, v44, -v45
	v_lshrrev_b32_e32 v7, 9, v7
	s_delay_alu instid0(VALU_DEP_2) | instskip(NEXT) | instid1(VALU_DEP_2)
	v_fmac_f32_e32 v9, 0x33a22168, v44
	v_or_b32_e32 v7, v8, v7
	s_delay_alu instid0(VALU_DEP_1) | instskip(SKIP_1) | instid1(VALU_DEP_1)
	v_fmac_f32_e32 v9, 0x3fc90fda, v7
	v_lshrrev_b32_e32 v7, 30, v0
	v_dual_add_f32 v0, v45, v9 :: v_dual_add_nc_u32 v7, v43, v7
.LBB10_40:                              ;   in Loop: Header=BB10_9 Depth=1
	s_and_not1_saveexec_b32 s0, s22
	s_cbranch_execz .LBB10_7
; %bb.41:                               ;   in Loop: Header=BB10_9 Depth=1
	v_mul_f32_e64 v0, 0x3f22f983, |v5|
	s_delay_alu instid0(VALU_DEP_1) | instskip(NEXT) | instid1(VALU_DEP_1)
	v_rndne_f32_e32 v7, v0
	v_fma_f32 v0, 0xbfc90fda, v7, |v5|
	s_delay_alu instid0(VALU_DEP_1) | instskip(NEXT) | instid1(VALU_DEP_1)
	v_fmac_f32_e32 v0, 0xb3a22168, v7
	v_fmac_f32_e32 v0, 0xa7c234c4, v7
	v_cvt_i32_f32_e32 v7, v7
	s_branch .LBB10_7
.LBB10_42:
	s_endpgm
.LBB10_43:
                                        ; implicit-def: $sgpr2_sgpr3
	s_branch .LBB10_4
	.section	.rodata,"a",@progbits
	.p2align	6, 0x0
	.amdhsa_kernel _ZN2at6native12_GLOBAL__N_143distribution_elementwise_grid_stride_kernelIfLi4EZNS0_9templates4cuda21uniform_and_transformIN3c104HalfEfPNS_17CUDAGeneratorImplEZZZNS4_13cauchy_kernelIS9_EEvRNS_18TensorIteratorBaseEddT_ENKUlvE_clEvENKUlvE1_clEvEUlfE_EEvSC_T1_T2_EUlP25hiprandStatePhilox4_32_10E0_ZNS1_27distribution_nullary_kernelIS7_f15HIP_vector_typeIfLj4EES9_SL_SG_EEvSC_SI_RKT3_T4_EUlifE_EEvlNS_15PhiloxCudaStateESH_SI_
		.amdhsa_group_segment_fixed_size 0
		.amdhsa_private_segment_fixed_size 0
		.amdhsa_kernarg_size 328
		.amdhsa_user_sgpr_count 15
		.amdhsa_user_sgpr_dispatch_ptr 0
		.amdhsa_user_sgpr_queue_ptr 0
		.amdhsa_user_sgpr_kernarg_segment_ptr 1
		.amdhsa_user_sgpr_dispatch_id 0
		.amdhsa_user_sgpr_private_segment_size 0
		.amdhsa_wavefront_size32 1
		.amdhsa_uses_dynamic_stack 0
		.amdhsa_enable_private_segment 0
		.amdhsa_system_sgpr_workgroup_id_x 1
		.amdhsa_system_sgpr_workgroup_id_y 0
		.amdhsa_system_sgpr_workgroup_id_z 0
		.amdhsa_system_sgpr_workgroup_info 0
		.amdhsa_system_vgpr_workitem_id 0
		.amdhsa_next_free_vgpr 52
		.amdhsa_next_free_sgpr 23
		.amdhsa_reserve_vcc 1
		.amdhsa_float_round_mode_32 0
		.amdhsa_float_round_mode_16_64 0
		.amdhsa_float_denorm_mode_32 3
		.amdhsa_float_denorm_mode_16_64 3
		.amdhsa_dx10_clamp 1
		.amdhsa_ieee_mode 1
		.amdhsa_fp16_overflow 0
		.amdhsa_workgroup_processor_mode 1
		.amdhsa_memory_ordered 1
		.amdhsa_forward_progress 0
		.amdhsa_shared_vgpr_count 0
		.amdhsa_exception_fp_ieee_invalid_op 0
		.amdhsa_exception_fp_denorm_src 0
		.amdhsa_exception_fp_ieee_div_zero 0
		.amdhsa_exception_fp_ieee_overflow 0
		.amdhsa_exception_fp_ieee_underflow 0
		.amdhsa_exception_fp_ieee_inexact 0
		.amdhsa_exception_int_div_zero 0
	.end_amdhsa_kernel
	.section	.text._ZN2at6native12_GLOBAL__N_143distribution_elementwise_grid_stride_kernelIfLi4EZNS0_9templates4cuda21uniform_and_transformIN3c104HalfEfPNS_17CUDAGeneratorImplEZZZNS4_13cauchy_kernelIS9_EEvRNS_18TensorIteratorBaseEddT_ENKUlvE_clEvENKUlvE1_clEvEUlfE_EEvSC_T1_T2_EUlP25hiprandStatePhilox4_32_10E0_ZNS1_27distribution_nullary_kernelIS7_f15HIP_vector_typeIfLj4EES9_SL_SG_EEvSC_SI_RKT3_T4_EUlifE_EEvlNS_15PhiloxCudaStateESH_SI_,"axG",@progbits,_ZN2at6native12_GLOBAL__N_143distribution_elementwise_grid_stride_kernelIfLi4EZNS0_9templates4cuda21uniform_and_transformIN3c104HalfEfPNS_17CUDAGeneratorImplEZZZNS4_13cauchy_kernelIS9_EEvRNS_18TensorIteratorBaseEddT_ENKUlvE_clEvENKUlvE1_clEvEUlfE_EEvSC_T1_T2_EUlP25hiprandStatePhilox4_32_10E0_ZNS1_27distribution_nullary_kernelIS7_f15HIP_vector_typeIfLj4EES9_SL_SG_EEvSC_SI_RKT3_T4_EUlifE_EEvlNS_15PhiloxCudaStateESH_SI_,comdat
.Lfunc_end10:
	.size	_ZN2at6native12_GLOBAL__N_143distribution_elementwise_grid_stride_kernelIfLi4EZNS0_9templates4cuda21uniform_and_transformIN3c104HalfEfPNS_17CUDAGeneratorImplEZZZNS4_13cauchy_kernelIS9_EEvRNS_18TensorIteratorBaseEddT_ENKUlvE_clEvENKUlvE1_clEvEUlfE_EEvSC_T1_T2_EUlP25hiprandStatePhilox4_32_10E0_ZNS1_27distribution_nullary_kernelIS7_f15HIP_vector_typeIfLj4EES9_SL_SG_EEvSC_SI_RKT3_T4_EUlifE_EEvlNS_15PhiloxCudaStateESH_SI_, .Lfunc_end10-_ZN2at6native12_GLOBAL__N_143distribution_elementwise_grid_stride_kernelIfLi4EZNS0_9templates4cuda21uniform_and_transformIN3c104HalfEfPNS_17CUDAGeneratorImplEZZZNS4_13cauchy_kernelIS9_EEvRNS_18TensorIteratorBaseEddT_ENKUlvE_clEvENKUlvE1_clEvEUlfE_EEvSC_T1_T2_EUlP25hiprandStatePhilox4_32_10E0_ZNS1_27distribution_nullary_kernelIS7_f15HIP_vector_typeIfLj4EES9_SL_SG_EEvSC_SI_RKT3_T4_EUlifE_EEvlNS_15PhiloxCudaStateESH_SI_
                                        ; -- End function
	.section	.AMDGPU.csdata,"",@progbits
; Kernel info:
; codeLenInByte = 6972
; NumSgprs: 25
; NumVgprs: 52
; ScratchSize: 0
; MemoryBound: 0
; FloatMode: 240
; IeeeMode: 1
; LDSByteSize: 0 bytes/workgroup (compile time only)
; SGPRBlocks: 3
; VGPRBlocks: 6
; NumSGPRsForWavesPerEU: 25
; NumVGPRsForWavesPerEU: 52
; Occupancy: 16
; WaveLimiterHint : 0
; COMPUTE_PGM_RSRC2:SCRATCH_EN: 0
; COMPUTE_PGM_RSRC2:USER_SGPR: 15
; COMPUTE_PGM_RSRC2:TRAP_HANDLER: 0
; COMPUTE_PGM_RSRC2:TGID_X_EN: 1
; COMPUTE_PGM_RSRC2:TGID_Y_EN: 0
; COMPUTE_PGM_RSRC2:TGID_Z_EN: 0
; COMPUTE_PGM_RSRC2:TIDIG_COMP_CNT: 0
	.section	.text._ZN2at6native12_GLOBAL__N_143distribution_elementwise_grid_stride_kernelIfLi4EZNS0_9templates4cuda21uniform_and_transformIN3c104HalfEfPNS_17CUDAGeneratorImplEZZZNS4_13cauchy_kernelIS9_EEvRNS_18TensorIteratorBaseEddT_ENKUlvE_clEvENKUlvE1_clEvEUlfE_EEvSC_T1_T2_EUlP25hiprandStatePhilox4_32_10E0_ZNS1_27distribution_nullary_kernelIS7_f15HIP_vector_typeIfLj4EES9_SL_SG_EEvSC_SI_RKT3_T4_EUlifE0_EEvlNS_15PhiloxCudaStateESH_SI_,"axG",@progbits,_ZN2at6native12_GLOBAL__N_143distribution_elementwise_grid_stride_kernelIfLi4EZNS0_9templates4cuda21uniform_and_transformIN3c104HalfEfPNS_17CUDAGeneratorImplEZZZNS4_13cauchy_kernelIS9_EEvRNS_18TensorIteratorBaseEddT_ENKUlvE_clEvENKUlvE1_clEvEUlfE_EEvSC_T1_T2_EUlP25hiprandStatePhilox4_32_10E0_ZNS1_27distribution_nullary_kernelIS7_f15HIP_vector_typeIfLj4EES9_SL_SG_EEvSC_SI_RKT3_T4_EUlifE0_EEvlNS_15PhiloxCudaStateESH_SI_,comdat
	.globl	_ZN2at6native12_GLOBAL__N_143distribution_elementwise_grid_stride_kernelIfLi4EZNS0_9templates4cuda21uniform_and_transformIN3c104HalfEfPNS_17CUDAGeneratorImplEZZZNS4_13cauchy_kernelIS9_EEvRNS_18TensorIteratorBaseEddT_ENKUlvE_clEvENKUlvE1_clEvEUlfE_EEvSC_T1_T2_EUlP25hiprandStatePhilox4_32_10E0_ZNS1_27distribution_nullary_kernelIS7_f15HIP_vector_typeIfLj4EES9_SL_SG_EEvSC_SI_RKT3_T4_EUlifE0_EEvlNS_15PhiloxCudaStateESH_SI_ ; -- Begin function _ZN2at6native12_GLOBAL__N_143distribution_elementwise_grid_stride_kernelIfLi4EZNS0_9templates4cuda21uniform_and_transformIN3c104HalfEfPNS_17CUDAGeneratorImplEZZZNS4_13cauchy_kernelIS9_EEvRNS_18TensorIteratorBaseEddT_ENKUlvE_clEvENKUlvE1_clEvEUlfE_EEvSC_T1_T2_EUlP25hiprandStatePhilox4_32_10E0_ZNS1_27distribution_nullary_kernelIS7_f15HIP_vector_typeIfLj4EES9_SL_SG_EEvSC_SI_RKT3_T4_EUlifE0_EEvlNS_15PhiloxCudaStateESH_SI_
	.p2align	8
	.type	_ZN2at6native12_GLOBAL__N_143distribution_elementwise_grid_stride_kernelIfLi4EZNS0_9templates4cuda21uniform_and_transformIN3c104HalfEfPNS_17CUDAGeneratorImplEZZZNS4_13cauchy_kernelIS9_EEvRNS_18TensorIteratorBaseEddT_ENKUlvE_clEvENKUlvE1_clEvEUlfE_EEvSC_T1_T2_EUlP25hiprandStatePhilox4_32_10E0_ZNS1_27distribution_nullary_kernelIS7_f15HIP_vector_typeIfLj4EES9_SL_SG_EEvSC_SI_RKT3_T4_EUlifE0_EEvlNS_15PhiloxCudaStateESH_SI_,@function
_ZN2at6native12_GLOBAL__N_143distribution_elementwise_grid_stride_kernelIfLi4EZNS0_9templates4cuda21uniform_and_transformIN3c104HalfEfPNS_17CUDAGeneratorImplEZZZNS4_13cauchy_kernelIS9_EEvRNS_18TensorIteratorBaseEddT_ENKUlvE_clEvENKUlvE1_clEvEUlfE_EEvSC_T1_T2_EUlP25hiprandStatePhilox4_32_10E0_ZNS1_27distribution_nullary_kernelIS7_f15HIP_vector_typeIfLj4EES9_SL_SG_EEvSC_SI_RKT3_T4_EUlifE0_EEvlNS_15PhiloxCudaStateESH_SI_: ; @_ZN2at6native12_GLOBAL__N_143distribution_elementwise_grid_stride_kernelIfLi4EZNS0_9templates4cuda21uniform_and_transformIN3c104HalfEfPNS_17CUDAGeneratorImplEZZZNS4_13cauchy_kernelIS9_EEvRNS_18TensorIteratorBaseEddT_ENKUlvE_clEvENKUlvE1_clEvEUlfE_EEvSC_T1_T2_EUlP25hiprandStatePhilox4_32_10E0_ZNS1_27distribution_nullary_kernelIS7_f15HIP_vector_typeIfLj4EES9_SL_SG_EEvSC_SI_RKT3_T4_EUlifE0_EEvlNS_15PhiloxCudaStateESH_SI_
; %bb.0:
	s_clause 0x2
	s_load_b64 s[4:5], s[0:1], 0x10
	s_load_b128 s[16:19], s[0:1], 0x0
	s_load_b32 s2, s[0:1], 0x20
	s_waitcnt lgkmcnt(0)
	v_dual_mov_b32 v2, s4 :: v_dual_mov_b32 v3, s5
	v_dual_mov_b32 v10, s18 :: v_dual_mov_b32 v11, s19
	s_bitcmp0_b32 s2, 0
	s_mov_b32 s2, 0
	s_cbranch_scc1 .LBB11_2
; %bb.1:
	v_dual_mov_b32 v1, s4 :: v_dual_mov_b32 v2, s5
	v_dual_mov_b32 v4, s18 :: v_dual_mov_b32 v5, s19
	s_load_b64 s[4:5], s[0:1], 0x18
	flat_load_b64 v[2:3], v[1:2]
	flat_load_b64 v[10:11], v[4:5]
	s_waitcnt vmcnt(1) lgkmcnt(0)
	v_add_co_u32 v2, vcc_lo, v2, s4
	v_add_co_ci_u32_e32 v3, vcc_lo, s5, v3, vcc_lo
.LBB11_2:
	s_clause 0x1
	s_load_b32 s3, s[0:1], 0x154
	s_load_b32 s4, s[0:1], 0x148
	s_waitcnt lgkmcnt(0)
	s_and_b32 s5, s3, 0xffff
	s_add_u32 s6, s16, -1
	s_mul_i32 s26, s4, s5
	s_addc_u32 s3, s17, -1
	s_lshl_b32 s27, s26, 2
	s_cmp_lg_u64 s[2:3], 0
	s_cbranch_scc0 .LBB11_95
; %bb.3:
	v_cvt_f32_ubyte0_e32 v1, 0
	v_cvt_f32_u32_e32 v4, s27
	s_sub_u32 s8, 0, s27
	s_subb_u32 s9, 0, 0
	s_delay_alu instid0(VALU_DEP_1) | instskip(NEXT) | instid1(VALU_DEP_1)
	v_fmamk_f32 v1, v1, 0x4f800000, v4
	v_rcp_f32_e32 v1, v1
	s_waitcnt_depctr 0xfff
	v_mul_f32_e32 v1, 0x5f7ffffc, v1
	s_delay_alu instid0(VALU_DEP_1) | instskip(NEXT) | instid1(VALU_DEP_1)
	v_mul_f32_e32 v4, 0x2f800000, v1
	v_trunc_f32_e32 v4, v4
	s_delay_alu instid0(VALU_DEP_1) | instskip(SKIP_1) | instid1(VALU_DEP_2)
	v_fmamk_f32 v1, v4, 0xcf800000, v1
	v_cvt_u32_f32_e32 v4, v4
	v_cvt_u32_f32_e32 v1, v1
	s_delay_alu instid0(VALU_DEP_2) | instskip(NEXT) | instid1(VALU_DEP_2)
	v_readfirstlane_b32 s2, v4
	v_readfirstlane_b32 s7, v1
	s_delay_alu instid0(VALU_DEP_2) | instskip(NEXT) | instid1(VALU_DEP_1)
	s_mul_i32 s10, s8, s2
	s_mul_hi_u32 s12, s8, s7
	s_mul_i32 s11, s9, s7
	s_add_i32 s10, s12, s10
	s_mul_i32 s13, s8, s7
	s_add_i32 s10, s10, s11
	s_mul_hi_u32 s12, s7, s13
	s_mul_hi_u32 s14, s2, s13
	s_mul_i32 s11, s2, s13
	s_mul_hi_u32 s13, s7, s10
	s_mul_i32 s7, s7, s10
	s_mul_hi_u32 s18, s2, s10
	s_add_u32 s7, s12, s7
	s_addc_u32 s12, 0, s13
	s_add_u32 s7, s7, s11
	s_mul_i32 s10, s2, s10
	s_addc_u32 s7, s12, s14
	s_addc_u32 s11, s18, 0
	s_add_u32 s7, s7, s10
	s_addc_u32 s10, 0, s11
	v_add_co_u32 v1, s7, v1, s7
	s_delay_alu instid0(VALU_DEP_1) | instskip(SKIP_1) | instid1(VALU_DEP_1)
	s_cmp_lg_u32 s7, 0
	s_addc_u32 s2, s2, s10
	v_readfirstlane_b32 s7, v1
	s_mul_i32 s10, s8, s2
	s_delay_alu instid0(VALU_DEP_1)
	s_mul_hi_u32 s11, s8, s7
	s_mul_i32 s9, s9, s7
	s_add_i32 s10, s11, s10
	s_mul_i32 s8, s8, s7
	s_add_i32 s10, s10, s9
	s_mul_hi_u32 s11, s2, s8
	s_mul_i32 s12, s2, s8
	s_mul_hi_u32 s8, s7, s8
	s_mul_hi_u32 s13, s7, s10
	s_mul_i32 s7, s7, s10
	s_mul_hi_u32 s9, s2, s10
	s_add_u32 s7, s8, s7
	s_addc_u32 s8, 0, s13
	s_add_u32 s7, s7, s12
	s_mul_i32 s10, s2, s10
	s_addc_u32 s7, s8, s11
	s_addc_u32 s8, s9, 0
	s_add_u32 s7, s7, s10
	s_addc_u32 s8, 0, s8
	v_add_co_u32 v1, s7, v1, s7
	s_delay_alu instid0(VALU_DEP_1) | instskip(SKIP_2) | instid1(VALU_DEP_1)
	s_cmp_lg_u32 s7, 0
	s_addc_u32 s7, s2, s8
	s_ashr_i32 s8, s3, 31
	v_readfirstlane_b32 s10, v1
	s_add_u32 s2, s6, s8
	s_mov_b32 s9, s8
	s_addc_u32 s3, s3, s8
	s_delay_alu instid0(SALU_CYCLE_1) | instskip(NEXT) | instid1(SALU_CYCLE_1)
	s_xor_b64 s[2:3], s[2:3], s[8:9]
	s_mul_i32 s12, s2, s7
	s_mul_hi_u32 s13, s2, s10
	s_mul_hi_u32 s11, s2, s7
	;; [unrolled: 1-line block ×3, first 2 shown]
	s_mul_i32 s10, s3, s10
	s_add_u32 s12, s13, s12
	s_addc_u32 s11, 0, s11
	s_mul_hi_u32 s14, s3, s7
	s_add_u32 s10, s12, s10
	s_mul_i32 s7, s3, s7
	s_addc_u32 s10, s11, s18
	s_addc_u32 s11, s14, 0
	s_add_u32 s7, s10, s7
	s_addc_u32 s10, 0, s11
	s_mul_i32 s12, s27, s7
	s_add_u32 s11, s7, 1
	v_sub_co_u32 v1, s2, s2, s12
	s_mul_hi_u32 s12, s27, s7
	s_addc_u32 s13, s10, 0
	s_mul_i32 s14, s27, s10
	s_delay_alu instid0(VALU_DEP_1)
	v_sub_co_u32 v4, s18, v1, s27
	s_add_u32 s19, s7, 2
	s_addc_u32 s20, s10, 0
	s_add_i32 s12, s12, s14
	s_cmp_lg_u32 s2, 0
	v_readfirstlane_b32 s2, v4
	s_subb_u32 s3, s3, s12
	s_cmp_lg_u32 s18, 0
	s_subb_u32 s12, s3, 0
	s_delay_alu instid0(VALU_DEP_1) | instskip(SKIP_4) | instid1(SALU_CYCLE_1)
	s_cmp_ge_u32 s2, s27
	s_cselect_b32 s2, -1, 0
	s_cmp_eq_u32 s12, 0
	v_readfirstlane_b32 s12, v1
	s_cselect_b32 s2, s2, -1
	s_cmp_lg_u32 s2, 0
	s_cselect_b32 s2, s19, s11
	s_cselect_b32 s11, s20, s13
	s_cmp_ge_u32 s12, s27
	s_cselect_b32 s12, -1, 0
	s_cmp_eq_u32 s3, 0
	s_cselect_b32 s3, s12, -1
	s_delay_alu instid0(SALU_CYCLE_1) | instskip(SKIP_2) | instid1(SALU_CYCLE_1)
	s_cmp_lg_u32 s3, 0
	s_cselect_b32 s3, s11, s10
	s_cselect_b32 s2, s2, s7
	s_xor_b64 s[2:3], s[2:3], s[8:9]
	s_delay_alu instid0(SALU_CYCLE_1)
	s_sub_u32 s2, s2, s8
	s_subb_u32 s3, s3, s8
	s_cbranch_execnz .LBB11_5
.LBB11_4:
	v_cvt_f32_u32_e32 v1, s27
	s_sub_i32 s3, 0, s27
	s_delay_alu instid0(VALU_DEP_1) | instskip(SKIP_2) | instid1(VALU_DEP_1)
	v_rcp_iflag_f32_e32 v1, v1
	s_waitcnt_depctr 0xfff
	v_mul_f32_e32 v1, 0x4f7ffffe, v1
	v_cvt_u32_f32_e32 v1, v1
	s_delay_alu instid0(VALU_DEP_1) | instskip(NEXT) | instid1(VALU_DEP_1)
	v_readfirstlane_b32 s2, v1
	s_mul_i32 s3, s3, s2
	s_delay_alu instid0(SALU_CYCLE_1) | instskip(NEXT) | instid1(SALU_CYCLE_1)
	s_mul_hi_u32 s3, s2, s3
	s_add_i32 s2, s2, s3
	s_delay_alu instid0(SALU_CYCLE_1) | instskip(NEXT) | instid1(SALU_CYCLE_1)
	s_mul_hi_u32 s2, s6, s2
	s_mul_i32 s3, s2, s27
	s_delay_alu instid0(SALU_CYCLE_1)
	s_sub_i32 s3, s6, s3
	s_add_i32 s6, s2, 1
	s_sub_i32 s7, s3, s27
	s_cmp_ge_u32 s3, s27
	s_cselect_b32 s2, s6, s2
	s_cselect_b32 s3, s7, s3
	s_add_i32 s6, s2, 1
	s_cmp_ge_u32 s3, s27
	s_mov_b32 s3, 0
	s_cselect_b32 s2, s6, s2
.LBB11_5:
	v_mov_b32_e32 v1, 0
	s_add_u32 s2, s2, 1
	s_addc_u32 s3, s3, 0
	s_mul_hi_u32 s6, s26, s2
	s_mul_i32 s3, s26, s3
	v_mad_u64_u32 v[12:13], null, s5, s15, v[0:1]
	s_mul_hi_u32 s4, s4, s5
	s_add_i32 s3, s6, s3
	s_mul_i32 s4, s4, s2
	s_mul_i32 s2, s26, s2
	s_add_i32 s3, s3, s4
	s_delay_alu instid0(SALU_CYCLE_1)
	s_lshl_b64 s[18:19], s[2:3], 2
	s_mov_b32 s2, exec_lo
	v_cmpx_gt_i64_e64 s[18:19], v[12:13]
	s_cbranch_execz .LBB11_94
; %bb.6:
	v_alignbit_b32 v17, v3, v2, 2
	v_mad_u64_u32 v[6:7], null, 0xcd9e8d57, v12, 0
	v_lshrrev_b32_e32 v18, 2, v3
	s_waitcnt vmcnt(0)
	v_dual_mov_b32 v16, v11 :: v_dual_add_nc_u32 v27, 0x96a522ad, v11
	v_mad_u64_u32 v[4:5], null, 0xd2511f53, v17, 0
	v_add_co_u32 v20, null, 0x9e3779b9, v10
	v_xor3_b32 v3, v10, v7, v18
	s_delay_alu instid0(VALU_DEP_4) | instskip(SKIP_2) | instid1(VALU_DEP_4)
	v_add_co_u32 v19, null, 0xbb67ae85, v16
	v_add_co_u32 v21, null, 0x3c6ef372, v10
	v_xor_b32_e32 v0, v5, v11
	v_mad_u64_u32 v[7:8], null, 0xd2511f53, v3, 0
	v_add_co_u32 v22, null, 0x76cf5d0a, v16
	s_delay_alu instid0(VALU_DEP_3) | instskip(SKIP_2) | instid1(VALU_DEP_3)
	v_xor_b32_e32 v0, v0, v13
	v_add_co_u32 v23, null, 0x32370b8f, v16
	v_add_co_u32 v25, null, 0xdaa66d2b, v10
	v_mad_u64_u32 v[14:15], null, 0xcd9e8d57, v0, 0
	v_xor3_b32 v0, v19, v8, v4
	v_and_b32_e32 v24, 3, v2
	v_add_co_u32 v28, null, 0x78dde6e4, v10
	v_add_co_u32 v30, null, 0xed9eba14, v16
	v_xor3_b32 v8, v20, v15, v6
	v_mad_u64_u32 v[3:4], null, 0xcd9e8d57, v0, 0
	v_add_co_u32 v31, null, 0x1715609d, v10
	s_delay_alu instid0(VALU_DEP_3) | instskip(SKIP_1) | instid1(VALU_DEP_4)
	v_mad_u64_u32 v[5:6], null, 0xd2511f53, v8, 0
	v_add_co_u32 v32, null, 0xa9066899, v16
	v_xor3_b32 v0, v21, v4, v14
	v_add_co_u32 v33, null, 0xb54cda56, v10
	v_add_co_u32 v35, null, 0x646e171e, v16
	v_xor3_b32 v4, v22, v6, v7
	s_delay_alu instid0(VALU_DEP_4) | instskip(SKIP_2) | instid1(VALU_DEP_3)
	v_mad_u64_u32 v[6:7], null, 0xd2511f53, v0, 0
	s_load_b256 s[4:11], s[0:1], 0x30
	v_add_co_u32 v29, null, 0x5384540f, v10
	v_mad_u64_u32 v[8:9], null, 0xcd9e8d57, v4, 0
	v_add_co_u32 v36, null, 0x1fd5c5a3, v16
	s_delay_alu instid0(VALU_DEP_4) | instskip(SKIP_3) | instid1(VALU_DEP_4)
	v_xor3_b32 v0, v23, v7, v5
	v_add_co_u32 v34, null, 0xf1bbcdc8, v10
	v_add_co_u32 v37, null, 0xdb3d7428, v16
	v_xor3_b32 v7, v25, v9, v3
	v_mad_u64_u32 v[2:3], null, 0xcd9e8d57, v0, 0
	s_add_u32 s20, s0, 48
	s_clause 0x1
	s_load_b64 s[22:23], s[0:1], 0xf4
	s_load_b128 s[12:15], s[0:1], 0x138
	v_mad_u64_u32 v[4:5], null, 0xd2511f53, v7, 0
	s_addc_u32 s21, s1, 0
	s_waitcnt lgkmcnt(0)
	s_add_i32 s2, s4, -1
	v_xor3_b32 v0, v28, v3, v8
	s_cmp_gt_u32 s2, 1
	v_add_nc_u32_e32 v26, 0x8ff34781, v10
	s_cselect_b32 s11, -1, 0
	v_xor3_b32 v3, v30, v5, v6
	v_mad_u64_u32 v[5:6], null, 0xd2511f53, v0, 0
	s_cmp_lg_u32 s4, 0
	v_mov_b32_e32 v38, v12
	s_delay_alu instid0(VALU_DEP_3) | instskip(SKIP_2) | instid1(VALU_DEP_3)
	v_mad_u64_u32 v[7:8], null, 0xcd9e8d57, v3, 0
	s_cselect_b32 s30, -1, 0
	s_add_u32 s24, s0, 0xf4
	v_xor3_b32 v0, v32, v6, v4
	s_addc_u32 s25, s1, 0
	s_min_u32 s0, s2, 15
	s_cmp_gt_u32 s4, 1
	s_delay_alu instid0(VALU_DEP_2) | instskip(SKIP_3) | instid1(VALU_DEP_2)
	v_xor3_b32 v4, v31, v8, v2
	v_mad_u64_u32 v[2:3], null, 0xcd9e8d57, v0, 0
	s_cselect_b32 s4, -1, 0
	s_add_i32 s0, s0, 1
	v_mad_u64_u32 v[8:9], null, 0xd2511f53, v4, 0
	s_lshl_b32 s31, s26, 1
	s_and_b32 s33, s0, 3
	s_delay_alu instid0(VALU_DEP_2) | instskip(SKIP_3) | instid1(VALU_DEP_2)
	v_xor3_b32 v0, v33, v3, v7
	s_cmp_lg_u32 s2, 2
	s_mov_b32 s28, 0
	s_cselect_b32 s34, -1, 0
	v_xor3_b32 v7, v35, v9, v5
	v_mad_u64_u32 v[3:4], null, 0xd2511f53, v0, 0
	s_and_b32 s35, s0, 28
	s_cmp_lg_u32 s33, 0
	s_delay_alu instid0(VALU_DEP_2) | instskip(SKIP_2) | instid1(VALU_DEP_2)
	v_mad_u64_u32 v[5:6], null, 0xcd9e8d57, v7, 0
	s_mul_i32 s29, s26, 3
	s_cselect_b32 s36, -1, 0
	v_xor3_b32 v0, v36, v4, v8
	s_mov_b32 s37, 0x7fffff
	s_mov_b32 s38, 0xbc8cedd3
	;; [unrolled: 1-line block ×3, first 2 shown]
	s_delay_alu instid0(VALU_DEP_2) | instskip(SKIP_1) | instid1(VALU_DEP_2)
	v_xor3_b32 v2, v29, v6, v2
	v_mad_u64_u32 v[14:15], null, 0xcd9e8d57, v0, 0
	v_mad_u64_u32 v[39:40], null, 0xd2511f53, v2, 0
	s_delay_alu instid0(VALU_DEP_2) | instskip(NEXT) | instid1(VALU_DEP_2)
	v_xor3_b32 v0, v34, v15, v5
	v_xor3_b32 v4, v37, v40, v3
	s_delay_alu instid0(VALU_DEP_2) | instskip(NEXT) | instid1(VALU_DEP_2)
	v_mad_u64_u32 v[2:3], null, 0xd2511f53, v0, 0
	v_mad_u64_u32 v[6:7], null, 0xcd9e8d57, v4, 0
	s_delay_alu instid0(VALU_DEP_2) | instskip(NEXT) | instid1(VALU_DEP_2)
	v_mov_b32_e32 v8, v2
	v_xor3_b32 v5, v7, v14, v26
	s_delay_alu instid0(VALU_DEP_4)
	v_xor3_b32 v7, v3, v39, v27
	v_mov_b32_e32 v39, v13
	s_branch .LBB11_9
.LBB11_7:                               ;   in Loop: Header=BB11_9 Depth=1
	s_or_b32 exec_lo, exec_lo, s0
	s_delay_alu instid0(VALU_DEP_2) | instskip(NEXT) | instid1(VALU_DEP_1)
	v_mul_f32_e32 v9, v0, v0
	v_dual_fmaak_f32 v15, s39, v9, 0xbf039337 :: v_dual_and_b32 v8, 1, v8
	v_fmaak_f32 v16, s38, v9, 0x3ec54587
	s_delay_alu instid0(VALU_DEP_2) | instskip(NEXT) | instid1(VALU_DEP_3)
	v_cmp_eq_u32_e32 vcc_lo, 0, v8
	v_fmaak_f32 v15, v9, v15, 0x3f93f425
	s_delay_alu instid0(VALU_DEP_1) | instskip(SKIP_2) | instid1(VALU_DEP_1)
	v_rcp_f32_e32 v15, v15
	s_waitcnt_depctr 0xfff
	v_mul_f32_e32 v15, v16, v15
	v_mul_f32_e32 v9, v9, v15
	s_delay_alu instid0(VALU_DEP_1) | instskip(NEXT) | instid1(VALU_DEP_1)
	v_fma_f32 v15, v9, v0, v0
	v_rcp_f32_e32 v16, v15
	v_sub_f32_e32 v40, v15, v0
	s_delay_alu instid0(VALU_DEP_1) | instskip(SKIP_2) | instid1(VALU_DEP_1)
	v_fma_f32 v0, v9, v0, -v40
	s_waitcnt_depctr 0xfff
	v_fma_f32 v9, v15, -v16, 1.0
	v_fma_f32 v0, v0, -v16, v9
	s_delay_alu instid0(VALU_DEP_1) | instskip(NEXT) | instid1(VALU_DEP_1)
	v_fma_f32 v0, v0, -v16, -v16
	v_cndmask_b32_e32 v0, v0, v15, vcc_lo
	v_cmp_class_f32_e64 vcc_lo, v6, 0x1f8
	s_delay_alu instid0(VALU_DEP_2) | instskip(NEXT) | instid1(VALU_DEP_1)
	v_xor3_b32 v0, v7, v6, v0
	v_cndmask_b32_e32 v0, 0x7fc00000, v0, vcc_lo
	s_delay_alu instid0(VALU_DEP_1)
	v_fma_mixlo_f16 v0, s15, v0, s14
	global_store_b16 v5, v0, s[12:13]
.LBB11_8:                               ;   in Loop: Header=BB11_9 Depth=1
	s_or_b32 exec_lo, exec_lo, s40
	v_add_co_u32 v12, vcc_lo, v12, s27
	v_add_co_ci_u32_e32 v13, vcc_lo, 0, v13, vcc_lo
	v_mov_b32_e32 v5, v14
	s_waitcnt_vscnt null, 0x0
	s_barrier
	s_delay_alu instid0(VALU_DEP_2)
	v_cmp_le_i64_e32 vcc_lo, s[18:19], v[12:13]
	buffer_gl0_inv
	v_mov_b32_e32 v8, v5
	v_dual_mov_b32 v7, v4 :: v_dual_mov_b32 v6, v3
	v_mov_b32_e32 v5, v2
	s_or_b32 s28, vcc_lo, s28
	s_delay_alu instid0(SALU_CYCLE_1)
	s_and_not1_b32 exec_lo, exec_lo, s28
	s_cbranch_execz .LBB11_94
.LBB11_9:                               ; =>This Loop Header: Depth=1
                                        ;     Child Loop BB11_24 Depth 2
                                        ;     Child Loop BB11_29 Depth 2
	;; [unrolled: 1-line block ×8, first 2 shown]
	v_add_co_u32 v17, vcc_lo, v17, 1
	s_delay_alu instid0(VALU_DEP_1) | instskip(SKIP_1) | instid1(VALU_DEP_3)
	v_cndmask_b32_e64 v0, 0, 1, vcc_lo
	v_add_co_ci_u32_e32 v18, vcc_lo, 0, v18, vcc_lo
	v_mad_u64_u32 v[2:3], null, 0xd2511f53, v17, 0
	s_mov_b32 s0, exec_lo
	s_delay_alu instid0(VALU_DEP_2) | instskip(SKIP_1) | instid1(VALU_DEP_1)
	v_cmp_eq_u32_e32 vcc_lo, 0, v18
	v_cndmask_b32_e32 v0, 0, v0, vcc_lo
	v_add_nc_u32_e32 v38, v0, v38
	s_delay_alu instid0(VALU_DEP_1) | instskip(SKIP_2) | instid1(VALU_DEP_2)
	v_cmp_eq_u32_e32 vcc_lo, 0, v38
	v_mad_u64_u32 v[14:15], null, 0xcd9e8d57, v38, 0
	v_cndmask_b32_e32 v0, 0, v0, vcc_lo
	v_xor3_b32 v9, v15, v10, v18
	s_delay_alu instid0(VALU_DEP_2) | instskip(SKIP_1) | instid1(VALU_DEP_3)
	v_add_nc_u32_e32 v39, v0, v39
	v_xor_b32_e32 v0, v3, v11
	v_mad_u64_u32 v[3:4], null, 0xd2511f53, v9, 0
	s_delay_alu instid0(VALU_DEP_2) | instskip(NEXT) | instid1(VALU_DEP_1)
	v_xor_b32_e32 v0, v39, v0
	v_mad_u64_u32 v[15:16], null, 0xcd9e8d57, v0, 0
	s_delay_alu instid0(VALU_DEP_3) | instskip(NEXT) | instid1(VALU_DEP_1)
	v_xor3_b32 v0, v19, v4, v2
	v_mad_u64_u32 v[40:41], null, 0xcd9e8d57, v0, 0
	s_delay_alu instid0(VALU_DEP_3) | instskip(NEXT) | instid1(VALU_DEP_1)
	v_xor3_b32 v2, v20, v16, v14
	v_mad_u64_u32 v[42:43], null, 0xd2511f53, v2, 0
	s_delay_alu instid0(VALU_DEP_3) | instskip(NEXT) | instid1(VALU_DEP_2)
	v_xor3_b32 v0, v21, v41, v15
	v_xor3_b32 v4, v22, v43, v3
	s_delay_alu instid0(VALU_DEP_2) | instskip(NEXT) | instid1(VALU_DEP_2)
	v_mad_u64_u32 v[2:3], null, 0xd2511f53, v0, 0
	v_mad_u64_u32 v[14:15], null, 0xcd9e8d57, v4, 0
	s_delay_alu instid0(VALU_DEP_2) | instskip(NEXT) | instid1(VALU_DEP_2)
	v_xor3_b32 v0, v23, v3, v42
	v_xor3_b32 v9, v25, v15, v40
	s_delay_alu instid0(VALU_DEP_2) | instskip(NEXT) | instid1(VALU_DEP_2)
	v_mad_u64_u32 v[3:4], null, 0xcd9e8d57, v0, 0
	v_mad_u64_u32 v[15:16], null, 0xd2511f53, v9, 0
	s_delay_alu instid0(VALU_DEP_2) | instskip(NEXT) | instid1(VALU_DEP_2)
	;; [unrolled: 6-line block ×7, first 2 shown]
	v_xor3_b32 v9, v15, v42, v27
	v_xor3_b32 v2, v4, v40, v26
	s_delay_alu instid0(VALU_DEP_2)
	v_mov_b32_e32 v4, v9
	v_cmpx_lt_i32_e32 1, v24
	s_xor_b32 s0, exec_lo, s0
	s_cbranch_execnz .LBB11_12
; %bb.10:                               ;   in Loop: Header=BB11_9 Depth=1
	s_and_not1_saveexec_b32 s0, s0
	s_cbranch_execnz .LBB11_17
.LBB11_11:                              ;   in Loop: Header=BB11_9 Depth=1
	s_or_b32 exec_lo, exec_lo, s0
	s_delay_alu instid0(SALU_CYCLE_1)
	s_mov_b32 s40, exec_lo
	v_cmpx_gt_i64_e64 s[16:17], v[12:13]
	s_cbranch_execnz .LBB11_20
	s_branch .LBB11_38
.LBB11_12:                              ;   in Loop: Header=BB11_9 Depth=1
	s_mov_b32 s1, exec_lo
	v_cmpx_lt_i32_e32 2, v24
	s_xor_b32 s1, exec_lo, s1
; %bb.13:                               ;   in Loop: Header=BB11_9 Depth=1
	v_dual_mov_b32 v6, v8 :: v_dual_mov_b32 v7, v2
	v_mov_b32_e32 v8, v3
	s_delay_alu instid0(VALU_DEP_2) | instskip(NEXT) | instid1(VALU_DEP_3)
	v_mov_b32_e32 v5, v6
	v_mov_b32_e32 v6, v7
	s_delay_alu instid0(VALU_DEP_3)
	v_mov_b32_e32 v7, v8
	v_mov_b32_e32 v8, v9
; %bb.14:                               ;   in Loop: Header=BB11_9 Depth=1
	s_and_not1_saveexec_b32 s1, s1
; %bb.15:                               ;   in Loop: Header=BB11_9 Depth=1
	s_delay_alu instid0(VALU_DEP_1)
	v_dual_mov_b32 v5, v7 :: v_dual_mov_b32 v6, v8
	v_dual_mov_b32 v7, v2 :: v_dual_mov_b32 v8, v3
; %bb.16:                               ;   in Loop: Header=BB11_9 Depth=1
	s_or_b32 exec_lo, exec_lo, s1
	s_and_not1_saveexec_b32 s0, s0
	s_cbranch_execz .LBB11_11
.LBB11_17:                              ;   in Loop: Header=BB11_9 Depth=1
	s_mov_b32 s1, exec_lo
	v_cmpx_eq_u32_e32 1, v24
; %bb.18:                               ;   in Loop: Header=BB11_9 Depth=1
	v_dual_mov_b32 v5, v6 :: v_dual_mov_b32 v6, v7
	v_dual_mov_b32 v7, v8 :: v_dual_mov_b32 v8, v2
; %bb.19:                               ;   in Loop: Header=BB11_9 Depth=1
	s_or_b32 exec_lo, exec_lo, s1
	s_delay_alu instid0(SALU_CYCLE_1) | instskip(NEXT) | instid1(SALU_CYCLE_1)
	s_or_b32 exec_lo, exec_lo, s0
	s_mov_b32 s40, exec_lo
	v_cmpx_gt_i64_e64 s[16:17], v[12:13]
	s_cbranch_execz .LBB11_38
.LBB11_20:                              ;   in Loop: Header=BB11_9 Depth=1
	s_and_not1_b32 vcc_lo, exec_lo, s11
	s_cbranch_vccnz .LBB11_26
; %bb.21:                               ;   in Loop: Header=BB11_9 Depth=1
	v_mov_b32_e32 v9, 0
	s_and_not1_b32 vcc_lo, exec_lo, s30
	s_cbranch_vccnz .LBB11_30
; %bb.22:                               ;   in Loop: Header=BB11_9 Depth=1
	s_and_not1_b32 vcc_lo, exec_lo, s34
	s_mov_b32 s0, 0
	s_cbranch_vccnz .LBB11_27
; %bb.23:                               ;   in Loop: Header=BB11_9 Depth=1
	v_dual_mov_b32 v9, 0 :: v_dual_mov_b32 v0, v12
	s_mov_b32 s41, 0
	s_mov_b64 s[0:1], s[20:21]
	s_mov_b64 s[2:3], s[24:25]
.LBB11_24:                              ;   Parent Loop BB11_9 Depth=1
                                        ; =>  This Inner Loop Header: Depth=2
	s_clause 0x1
	s_load_b256 s[44:51], s[0:1], 0x4
	s_load_b128 s[52:55], s[0:1], 0x24
	s_load_b128 s[56:59], s[2:3], 0x0
	s_add_u32 s0, s0, 48
	s_addc_u32 s1, s1, 0
	s_add_i32 s41, s41, 4
	s_add_u32 s2, s2, 16
	s_addc_u32 s3, s3, 0
	s_cmp_lg_u32 s35, s41
	s_waitcnt lgkmcnt(0)
	v_mul_hi_u32 v15, s45, v0
	s_delay_alu instid0(VALU_DEP_1) | instskip(NEXT) | instid1(VALU_DEP_1)
	v_add_nc_u32_e32 v15, v0, v15
	v_lshrrev_b32_e32 v15, s46, v15
	s_delay_alu instid0(VALU_DEP_1) | instskip(SKIP_1) | instid1(VALU_DEP_2)
	v_mul_hi_u32 v16, s48, v15
	v_mul_lo_u32 v42, v15, s44
	v_add_nc_u32_e32 v16, v15, v16
	s_delay_alu instid0(VALU_DEP_2) | instskip(NEXT) | instid1(VALU_DEP_2)
	v_sub_nc_u32_e32 v42, v0, v42
	v_lshrrev_b32_e32 v16, s49, v16
	s_delay_alu instid0(VALU_DEP_2) | instskip(NEXT) | instid1(VALU_DEP_2)
	v_mul_lo_u32 v42, v42, s56
	v_mul_hi_u32 v40, s51, v16
	v_mul_lo_u32 v43, v16, s47
	s_delay_alu instid0(VALU_DEP_2) | instskip(NEXT) | instid1(VALU_DEP_2)
	v_add_nc_u32_e32 v40, v16, v40
	v_sub_nc_u32_e32 v15, v15, v43
	s_delay_alu instid0(VALU_DEP_2) | instskip(NEXT) | instid1(VALU_DEP_2)
	v_lshrrev_b32_e32 v40, s52, v40
	v_mul_lo_u32 v15, v15, s57
	s_delay_alu instid0(VALU_DEP_2) | instskip(NEXT) | instid1(VALU_DEP_2)
	v_mul_hi_u32 v41, s54, v40
	v_add3_u32 v9, v42, v9, v15
	s_delay_alu instid0(VALU_DEP_2) | instskip(NEXT) | instid1(VALU_DEP_1)
	v_add_nc_u32_e32 v41, v40, v41
	v_lshrrev_b32_e32 v0, s55, v41
	v_mul_lo_u32 v41, v40, s50
	s_delay_alu instid0(VALU_DEP_2) | instskip(NEXT) | instid1(VALU_DEP_2)
	v_mul_lo_u32 v44, v0, s53
	v_sub_nc_u32_e32 v16, v16, v41
	s_delay_alu instid0(VALU_DEP_2) | instskip(NEXT) | instid1(VALU_DEP_2)
	v_sub_nc_u32_e32 v40, v40, v44
	v_mul_lo_u32 v16, v16, s58
	s_delay_alu instid0(VALU_DEP_2) | instskip(NEXT) | instid1(VALU_DEP_1)
	v_mul_lo_u32 v40, v40, s59
	v_add3_u32 v9, v16, v9, v40
	s_cbranch_scc1 .LBB11_24
; %bb.25:                               ;   in Loop: Header=BB11_9 Depth=1
	s_mov_b32 s0, s35
	s_and_not1_b32 vcc_lo, exec_lo, s36
	s_cbranch_vccz .LBB11_28
	s_branch .LBB11_30
.LBB11_26:                              ;   in Loop: Header=BB11_9 Depth=1
                                        ; implicit-def: $vgpr9
	s_branch .LBB11_31
.LBB11_27:                              ;   in Loop: Header=BB11_9 Depth=1
	v_mov_b32_e32 v0, v12
	s_and_not1_b32 vcc_lo, exec_lo, s36
	s_cbranch_vccnz .LBB11_30
.LBB11_28:                              ;   in Loop: Header=BB11_9 Depth=1
	s_lshl_b32 s1, s0, 2
	s_mul_i32 s2, s0, 12
	s_add_u32 s0, s24, s1
	s_addc_u32 s1, s25, 0
	s_add_u32 s2, s20, s2
	s_addc_u32 s3, s21, 0
	s_mov_b32 s41, s33
	.p2align	6
.LBB11_29:                              ;   Parent Loop BB11_9 Depth=1
                                        ; =>  This Inner Loop Header: Depth=2
	s_clause 0x1
	s_load_b64 s[42:43], s[2:3], 0x4
	s_load_b32 s44, s[2:3], 0xc
	s_add_u32 s2, s2, 12
	s_addc_u32 s3, s3, 0
	s_waitcnt lgkmcnt(0)
	v_mul_hi_u32 v15, s43, v0
	s_load_b32 s43, s[0:1], 0x0
	s_add_u32 s0, s0, 4
	s_addc_u32 s1, s1, 0
	s_add_i32 s41, s41, -1
	s_delay_alu instid0(SALU_CYCLE_1) | instskip(NEXT) | instid1(VALU_DEP_1)
	s_cmp_lg_u32 s41, 0
	v_add_nc_u32_e32 v15, v0, v15
	s_delay_alu instid0(VALU_DEP_1) | instskip(NEXT) | instid1(VALU_DEP_1)
	v_lshrrev_b32_e32 v40, s44, v15
	v_mul_lo_u32 v15, v40, s42
	s_delay_alu instid0(VALU_DEP_1) | instskip(SKIP_1) | instid1(VALU_DEP_1)
	v_sub_nc_u32_e32 v0, v0, v15
	s_waitcnt lgkmcnt(0)
	v_mad_u64_u32 v[15:16], null, v0, s43, v[9:10]
	s_delay_alu instid0(VALU_DEP_1)
	v_dual_mov_b32 v0, v40 :: v_dual_mov_b32 v9, v15
	s_cbranch_scc1 .LBB11_29
.LBB11_30:                              ;   in Loop: Header=BB11_9 Depth=1
	s_cbranch_execnz .LBB11_33
.LBB11_31:                              ;   in Loop: Header=BB11_9 Depth=1
	v_mul_hi_u32 v0, v12, s6
	s_and_not1_b32 vcc_lo, exec_lo, s4
	s_delay_alu instid0(VALU_DEP_1) | instskip(NEXT) | instid1(VALU_DEP_1)
	v_add_nc_u32_e32 v0, v0, v12
	v_lshrrev_b32_e32 v0, s7, v0
	s_delay_alu instid0(VALU_DEP_1) | instskip(NEXT) | instid1(VALU_DEP_1)
	v_mul_lo_u32 v9, v0, s5
	v_sub_nc_u32_e32 v9, v12, v9
	s_delay_alu instid0(VALU_DEP_1)
	v_mul_lo_u32 v9, v9, s22
	s_cbranch_vccnz .LBB11_33
; %bb.32:                               ;   in Loop: Header=BB11_9 Depth=1
	v_mul_hi_u32 v15, s9, v0
	s_delay_alu instid0(VALU_DEP_1) | instskip(NEXT) | instid1(VALU_DEP_1)
	v_add_nc_u32_e32 v15, v0, v15
	v_lshrrev_b32_e32 v15, s10, v15
	s_delay_alu instid0(VALU_DEP_1) | instskip(NEXT) | instid1(VALU_DEP_1)
	v_mul_lo_u32 v15, v15, s8
	v_sub_nc_u32_e32 v0, v0, v15
	s_delay_alu instid0(VALU_DEP_1) | instskip(NEXT) | instid1(VALU_DEP_1)
	v_mad_u64_u32 v[15:16], null, v0, s23, v[9:10]
	v_mov_b32_e32 v9, v15
.LBB11_33:                              ;   in Loop: Header=BB11_9 Depth=1
	v_cvt_f32_u32_e32 v0, v5
                                        ; implicit-def: $vgpr16
	s_mov_b32 s1, exec_lo
	s_delay_alu instid0(VALU_DEP_1) | instskip(NEXT) | instid1(VALU_DEP_1)
	v_fmaak_f32 v0, 0x2f800000, v0, 0x2f800000
	v_cmp_nlt_f32_e32 vcc_lo, 0x3f7ffffe, v0
	v_cndmask_b32_e32 v0, 0x3f7ffffe, v0, vcc_lo
	s_delay_alu instid0(VALU_DEP_1) | instskip(SKIP_1) | instid1(VALU_DEP_1)
	v_cmp_ngt_f32_e32 vcc_lo, 0x34000000, v0
	v_cndmask_b32_e32 v0, 0x34000000, v0, vcc_lo
	v_add_f32_e32 v0, -0.5, v0
	s_delay_alu instid0(VALU_DEP_1) | instskip(NEXT) | instid1(VALU_DEP_1)
	v_mul_f32_e32 v5, 0x40490fdb, v0
                                        ; implicit-def: $vgpr0
	v_and_b32_e32 v15, 0x7fffffff, v5
	v_cmpx_ngt_f32_e64 0x48000000, |v5|
	s_xor_b32 s3, exec_lo, s1
	s_cbranch_execz .LBB11_35
; %bb.34:                               ;   in Loop: Header=BB11_9 Depth=1
	s_delay_alu instid0(VALU_DEP_2) | instskip(SKIP_1) | instid1(VALU_DEP_2)
	v_lshrrev_b32_e32 v45, 23, v15
	v_and_or_b32 v16, v15, s37, 0x800000
	v_add_nc_u32_e32 v46, 0xffffff88, v45
	s_delay_alu instid0(VALU_DEP_2) | instskip(NEXT) | instid1(VALU_DEP_2)
	v_mad_u64_u32 v[40:41], null, 0xfe5163ab, v16, 0
	v_cmp_lt_u32_e32 vcc_lo, 63, v46
	v_cndmask_b32_e64 v47, 0, 0xffffffc0, vcc_lo
	s_delay_alu instid0(VALU_DEP_1) | instskip(NEXT) | instid1(VALU_DEP_1)
	v_dual_mov_b32 v0, v41 :: v_dual_add_nc_u32 v47, v47, v46
	v_mad_u64_u32 v[41:42], null, 0x3c439041, v16, v[0:1]
	s_delay_alu instid0(VALU_DEP_2) | instskip(NEXT) | instid1(VALU_DEP_2)
	v_cmp_lt_u32_e64 s0, 31, v47
	v_mov_b32_e32 v0, v42
	s_delay_alu instid0(VALU_DEP_2) | instskip(NEXT) | instid1(VALU_DEP_2)
	v_cndmask_b32_e64 v48, 0, 0xffffffe0, s0
	v_mad_u64_u32 v[42:43], null, 0xdb629599, v16, v[0:1]
	s_delay_alu instid0(VALU_DEP_2) | instskip(NEXT) | instid1(VALU_DEP_1)
	v_add_nc_u32_e32 v48, v48, v47
	v_cmp_lt_u32_e64 s1, 31, v48
	s_delay_alu instid0(VALU_DEP_3) | instskip(NEXT) | instid1(VALU_DEP_4)
	v_mov_b32_e32 v0, v43
	v_cndmask_b32_e32 v40, v42, v40, vcc_lo
	s_delay_alu instid0(VALU_DEP_2) | instskip(NEXT) | instid1(VALU_DEP_1)
	v_mad_u64_u32 v[43:44], null, 0xf534ddc0, v16, v[0:1]
	v_dual_mov_b32 v0, v44 :: v_dual_cndmask_b32 v41, v43, v41
	s_delay_alu instid0(VALU_DEP_1) | instskip(NEXT) | instid1(VALU_DEP_2)
	v_mad_u64_u32 v[44:45], null, 0xfc2757d1, v16, v[0:1]
	v_cndmask_b32_e64 v40, v41, v40, s0
	s_delay_alu instid0(VALU_DEP_2) | instskip(NEXT) | instid1(VALU_DEP_1)
	v_mov_b32_e32 v0, v45
	v_mad_u64_u32 v[45:46], null, 0x4e441529, v16, v[0:1]
	s_delay_alu instid0(VALU_DEP_1) | instskip(NEXT) | instid1(VALU_DEP_1)
	v_mov_b32_e32 v0, v46
	v_mad_u64_u32 v[46:47], null, 0xa2f9836e, v16, v[0:1]
	v_cndmask_b32_e64 v0, 0, 0xffffffe0, s1
	s_delay_alu instid0(VALU_DEP_4) | instskip(NEXT) | instid1(VALU_DEP_2)
	v_cndmask_b32_e32 v16, v45, v43, vcc_lo
	v_add_nc_u32_e32 v0, v0, v48
	s_delay_alu instid0(VALU_DEP_4) | instskip(SKIP_1) | instid1(VALU_DEP_3)
	v_dual_cndmask_b32 v46, v46, v44 :: v_dual_cndmask_b32 v45, v47, v45
	v_cndmask_b32_e32 v44, v44, v42, vcc_lo
	v_cmp_eq_u32_e64 s2, 0, v0
	s_delay_alu instid0(VALU_DEP_3) | instskip(NEXT) | instid1(VALU_DEP_4)
	v_cndmask_b32_e64 v43, v46, v16, s0
	v_cndmask_b32_e64 v45, v45, v46, s0
	s_delay_alu instid0(VALU_DEP_4) | instskip(SKIP_2) | instid1(VALU_DEP_4)
	v_cndmask_b32_e64 v16, v16, v44, s0
	v_sub_nc_u32_e32 v46, 32, v0
	v_cndmask_b32_e64 v44, v44, v41, s0
	v_cndmask_b32_e64 v45, v45, v43, s1
	s_delay_alu instid0(VALU_DEP_4) | instskip(NEXT) | instid1(VALU_DEP_3)
	v_cndmask_b32_e64 v43, v43, v16, s1
	v_cndmask_b32_e64 v16, v16, v44, s1
	;; [unrolled: 1-line block ×3, first 2 shown]
	s_delay_alu instid0(VALU_DEP_3) | instskip(NEXT) | instid1(VALU_DEP_3)
	v_alignbit_b32 v47, v45, v43, v46
	v_alignbit_b32 v48, v43, v16, v46
	s_delay_alu instid0(VALU_DEP_3) | instskip(NEXT) | instid1(VALU_DEP_3)
	v_alignbit_b32 v46, v16, v40, v46
	v_cndmask_b32_e64 v0, v47, v45, s2
	s_delay_alu instid0(VALU_DEP_3) | instskip(NEXT) | instid1(VALU_DEP_3)
	v_cndmask_b32_e64 v42, v48, v43, s2
	v_cndmask_b32_e64 v16, v46, v16, s2
	s_delay_alu instid0(VALU_DEP_3) | instskip(NEXT) | instid1(VALU_DEP_3)
	v_bfe_u32 v43, v0, 29, 1
	v_alignbit_b32 v41, v0, v42, 30
	s_delay_alu instid0(VALU_DEP_3) | instskip(SKIP_1) | instid1(VALU_DEP_4)
	v_alignbit_b32 v42, v42, v16, 30
	v_alignbit_b32 v16, v16, v40, 30
	v_sub_nc_u32_e32 v45, 0, v43
	s_delay_alu instid0(VALU_DEP_1) | instskip(SKIP_3) | instid1(VALU_DEP_4)
	v_xor_b32_e32 v44, v41, v45
	v_cmp_ne_u32_e32 vcc_lo, v41, v45
	v_xor_b32_e32 v40, v42, v45
	v_xor_b32_e32 v16, v16, v45
	v_clz_i32_u32_e32 v47, v44
	s_delay_alu instid0(VALU_DEP_1) | instskip(NEXT) | instid1(VALU_DEP_1)
	v_add_nc_u32_e32 v46, 1, v47
	v_cndmask_b32_e32 v41, 33, v46, vcc_lo
	s_delay_alu instid0(VALU_DEP_1) | instskip(NEXT) | instid1(VALU_DEP_1)
	v_sub_nc_u32_e32 v42, 32, v41
	v_alignbit_b32 v44, v44, v40, v42
	v_alignbit_b32 v16, v40, v16, v42
	v_lshrrev_b32_e32 v40, 29, v0
	s_delay_alu instid0(VALU_DEP_2) | instskip(NEXT) | instid1(VALU_DEP_2)
	v_alignbit_b32 v42, v44, v16, 9
	v_lshlrev_b32_e32 v40, 31, v40
	v_alignbit_b32 v44, v41, v44, 9
	s_delay_alu instid0(VALU_DEP_3) | instskip(NEXT) | instid1(VALU_DEP_2)
	v_clz_i32_u32_e32 v45, v42
	v_or_b32_e32 v44, v44, v40
	v_or_b32_e32 v40, 0x33800000, v40
	s_delay_alu instid0(VALU_DEP_3) | instskip(NEXT) | instid1(VALU_DEP_3)
	v_min_u32_e32 v45, 32, v45
	v_xor_b32_e32 v44, 1.0, v44
	s_delay_alu instid0(VALU_DEP_2) | instskip(SKIP_1) | instid1(VALU_DEP_3)
	v_sub_nc_u32_e32 v46, 31, v45
	v_add_lshl_u32 v41, v45, v41, 23
	v_mul_f32_e32 v45, 0x3fc90fda, v44
	s_delay_alu instid0(VALU_DEP_3) | instskip(NEXT) | instid1(VALU_DEP_3)
	v_alignbit_b32 v16, v42, v16, v46
	v_sub_nc_u32_e32 v40, v40, v41
	s_delay_alu instid0(VALU_DEP_3) | instskip(NEXT) | instid1(VALU_DEP_3)
	v_fma_f32 v41, 0x3fc90fda, v44, -v45
	v_lshrrev_b32_e32 v16, 9, v16
	s_delay_alu instid0(VALU_DEP_2) | instskip(NEXT) | instid1(VALU_DEP_2)
	v_fmac_f32_e32 v41, 0x33a22168, v44
	v_or_b32_e32 v16, v40, v16
	s_delay_alu instid0(VALU_DEP_1) | instskip(SKIP_1) | instid1(VALU_DEP_2)
	v_fmac_f32_e32 v41, 0x3fc90fda, v16
	v_lshrrev_b32_e32 v16, 30, v0
	v_add_f32_e32 v0, v45, v41
	s_delay_alu instid0(VALU_DEP_2)
	v_add_nc_u32_e32 v16, v43, v16
.LBB11_35:                              ;   in Loop: Header=BB11_9 Depth=1
	s_and_not1_saveexec_b32 s0, s3
; %bb.36:                               ;   in Loop: Header=BB11_9 Depth=1
	v_mul_f32_e64 v0, 0x3f22f983, |v5|
	s_delay_alu instid0(VALU_DEP_1) | instskip(NEXT) | instid1(VALU_DEP_1)
	v_rndne_f32_e32 v16, v0
	v_fma_f32 v0, 0xbfc90fda, v16, |v5|
	s_delay_alu instid0(VALU_DEP_1) | instskip(NEXT) | instid1(VALU_DEP_1)
	v_fmac_f32_e32 v0, 0xb3a22168, v16
	v_fmac_f32_e32 v0, 0xa7c234c4, v16
	v_cvt_i32_f32_e32 v16, v16
; %bb.37:                               ;   in Loop: Header=BB11_9 Depth=1
	s_or_b32 exec_lo, exec_lo, s0
	s_delay_alu instid0(VALU_DEP_2) | instskip(NEXT) | instid1(VALU_DEP_2)
	v_mul_f32_e32 v40, v0, v0
	v_and_b32_e32 v16, 1, v16
	s_delay_alu instid0(VALU_DEP_2) | instskip(SKIP_1) | instid1(VALU_DEP_3)
	v_fmaak_f32 v41, s39, v40, 0xbf039337
	v_fmaak_f32 v42, s38, v40, 0x3ec54587
	v_cmp_eq_u32_e32 vcc_lo, 0, v16
	s_delay_alu instid0(VALU_DEP_3) | instskip(NEXT) | instid1(VALU_DEP_1)
	v_fmaak_f32 v41, v40, v41, 0x3f93f425
	v_rcp_f32_e32 v41, v41
	s_waitcnt_depctr 0xfff
	v_mul_f32_e32 v41, v42, v41
	s_delay_alu instid0(VALU_DEP_1) | instskip(NEXT) | instid1(VALU_DEP_1)
	v_mul_f32_e32 v40, v40, v41
	v_fma_f32 v41, v40, v0, v0
	s_delay_alu instid0(VALU_DEP_1) | instskip(SKIP_1) | instid1(VALU_DEP_1)
	v_sub_f32_e32 v43, v41, v0
	v_rcp_f32_e32 v42, v41
	v_fma_f32 v0, v40, v0, -v43
	s_waitcnt_depctr 0xfff
	v_fma_f32 v40, v41, -v42, 1.0
	s_delay_alu instid0(VALU_DEP_1) | instskip(NEXT) | instid1(VALU_DEP_1)
	v_fma_f32 v0, v0, -v42, v40
	v_fma_f32 v0, v0, -v42, -v42
	s_delay_alu instid0(VALU_DEP_1) | instskip(SKIP_1) | instid1(VALU_DEP_2)
	v_cndmask_b32_e32 v0, v0, v41, vcc_lo
	v_cmp_class_f32_e64 vcc_lo, v5, 0x1f8
	v_xor3_b32 v0, v15, v5, v0
	s_delay_alu instid0(VALU_DEP_1) | instskip(NEXT) | instid1(VALU_DEP_1)
	v_cndmask_b32_e32 v0, 0x7fc00000, v0, vcc_lo
	v_fma_mixlo_f16 v0, s15, v0, s14
	global_store_b16 v9, v0, s[12:13]
.LBB11_38:                              ;   in Loop: Header=BB11_9 Depth=1
	s_or_b32 exec_lo, exec_lo, s40
	v_add_co_u32 v15, vcc_lo, v12, s26
	v_add_co_ci_u32_e32 v16, vcc_lo, 0, v13, vcc_lo
	s_mov_b32 s40, exec_lo
	s_delay_alu instid0(VALU_DEP_1)
	v_cmpx_gt_i64_e64 s[16:17], v[15:16]
	s_cbranch_execz .LBB11_57
; %bb.39:                               ;   in Loop: Header=BB11_9 Depth=1
	s_and_not1_b32 vcc_lo, exec_lo, s11
	s_cbranch_vccnz .LBB11_45
; %bb.40:                               ;   in Loop: Header=BB11_9 Depth=1
	v_mov_b32_e32 v5, 0
	s_and_not1_b32 vcc_lo, exec_lo, s30
	s_cbranch_vccnz .LBB11_49
; %bb.41:                               ;   in Loop: Header=BB11_9 Depth=1
	s_and_not1_b32 vcc_lo, exec_lo, s34
	s_mov_b32 s0, 0
	s_cbranch_vccnz .LBB11_46
; %bb.42:                               ;   in Loop: Header=BB11_9 Depth=1
	v_dual_mov_b32 v5, 0 :: v_dual_mov_b32 v0, v15
	s_mov_b32 s41, 0
	s_mov_b64 s[0:1], s[20:21]
	s_mov_b64 s[2:3], s[24:25]
.LBB11_43:                              ;   Parent Loop BB11_9 Depth=1
                                        ; =>  This Inner Loop Header: Depth=2
	s_clause 0x1
	s_load_b256 s[44:51], s[0:1], 0x4
	s_load_b128 s[52:55], s[0:1], 0x24
	s_load_b128 s[56:59], s[2:3], 0x0
	s_add_u32 s0, s0, 48
	s_addc_u32 s1, s1, 0
	s_add_i32 s41, s41, 4
	s_add_u32 s2, s2, 16
	s_addc_u32 s3, s3, 0
	s_cmp_eq_u32 s35, s41
	s_waitcnt lgkmcnt(0)
	v_mul_hi_u32 v9, s45, v0
	s_delay_alu instid0(VALU_DEP_1) | instskip(NEXT) | instid1(VALU_DEP_1)
	v_add_nc_u32_e32 v9, v0, v9
	v_lshrrev_b32_e32 v9, s46, v9
	s_delay_alu instid0(VALU_DEP_1) | instskip(SKIP_1) | instid1(VALU_DEP_2)
	v_mul_hi_u32 v16, s48, v9
	v_mul_lo_u32 v42, v9, s44
	v_add_nc_u32_e32 v16, v9, v16
	s_delay_alu instid0(VALU_DEP_2) | instskip(NEXT) | instid1(VALU_DEP_2)
	v_sub_nc_u32_e32 v42, v0, v42
	v_lshrrev_b32_e32 v16, s49, v16
	s_delay_alu instid0(VALU_DEP_2) | instskip(NEXT) | instid1(VALU_DEP_2)
	v_mul_lo_u32 v42, v42, s56
	v_mul_hi_u32 v40, s51, v16
	v_mul_lo_u32 v43, v16, s47
	s_delay_alu instid0(VALU_DEP_2) | instskip(NEXT) | instid1(VALU_DEP_2)
	v_add_nc_u32_e32 v40, v16, v40
	v_sub_nc_u32_e32 v9, v9, v43
	s_delay_alu instid0(VALU_DEP_2) | instskip(NEXT) | instid1(VALU_DEP_2)
	v_lshrrev_b32_e32 v40, s52, v40
	v_mul_lo_u32 v9, v9, s57
	s_delay_alu instid0(VALU_DEP_2) | instskip(NEXT) | instid1(VALU_DEP_2)
	v_mul_hi_u32 v41, s54, v40
	v_add3_u32 v5, v42, v5, v9
	s_delay_alu instid0(VALU_DEP_2) | instskip(NEXT) | instid1(VALU_DEP_1)
	v_add_nc_u32_e32 v41, v40, v41
	v_lshrrev_b32_e32 v0, s55, v41
	v_mul_lo_u32 v41, v40, s50
	s_delay_alu instid0(VALU_DEP_2) | instskip(NEXT) | instid1(VALU_DEP_2)
	v_mul_lo_u32 v44, v0, s53
	v_sub_nc_u32_e32 v16, v16, v41
	s_delay_alu instid0(VALU_DEP_2) | instskip(NEXT) | instid1(VALU_DEP_2)
	v_sub_nc_u32_e32 v40, v40, v44
	v_mul_lo_u32 v16, v16, s58
	s_delay_alu instid0(VALU_DEP_2) | instskip(NEXT) | instid1(VALU_DEP_1)
	v_mul_lo_u32 v40, v40, s59
	v_add3_u32 v5, v16, v5, v40
	s_cbranch_scc0 .LBB11_43
; %bb.44:                               ;   in Loop: Header=BB11_9 Depth=1
	s_mov_b32 s0, s35
	s_and_not1_b32 vcc_lo, exec_lo, s36
	s_cbranch_vccz .LBB11_47
	s_branch .LBB11_49
.LBB11_45:                              ;   in Loop: Header=BB11_9 Depth=1
                                        ; implicit-def: $vgpr5
	s_branch .LBB11_50
.LBB11_46:                              ;   in Loop: Header=BB11_9 Depth=1
	v_mov_b32_e32 v0, v15
	s_and_not1_b32 vcc_lo, exec_lo, s36
	s_cbranch_vccnz .LBB11_49
.LBB11_47:                              ;   in Loop: Header=BB11_9 Depth=1
	s_lshl_b32 s1, s0, 2
	s_mul_i32 s2, s0, 12
	s_add_u32 s0, s24, s1
	s_addc_u32 s1, s25, 0
	s_add_u32 s2, s20, s2
	s_addc_u32 s3, s21, 0
	s_mov_b32 s41, s33
	.p2align	6
.LBB11_48:                              ;   Parent Loop BB11_9 Depth=1
                                        ; =>  This Inner Loop Header: Depth=2
	s_clause 0x1
	s_load_b64 s[42:43], s[2:3], 0x4
	s_load_b32 s44, s[2:3], 0xc
	s_add_u32 s2, s2, 12
	s_addc_u32 s3, s3, 0
	s_waitcnt lgkmcnt(0)
	v_mul_hi_u32 v9, s43, v0
	s_load_b32 s43, s[0:1], 0x0
	s_add_u32 s0, s0, 4
	s_addc_u32 s1, s1, 0
	s_add_i32 s41, s41, -1
	s_delay_alu instid0(SALU_CYCLE_1) | instskip(NEXT) | instid1(VALU_DEP_1)
	s_cmp_lg_u32 s41, 0
	v_add_nc_u32_e32 v9, v0, v9
	s_delay_alu instid0(VALU_DEP_1) | instskip(NEXT) | instid1(VALU_DEP_1)
	v_lshrrev_b32_e32 v9, s44, v9
	v_mul_lo_u32 v16, v9, s42
	s_delay_alu instid0(VALU_DEP_1) | instskip(SKIP_1) | instid1(VALU_DEP_1)
	v_sub_nc_u32_e32 v0, v0, v16
	s_waitcnt lgkmcnt(0)
	v_mad_u64_u32 v[40:41], null, v0, s43, v[5:6]
	s_delay_alu instid0(VALU_DEP_1)
	v_dual_mov_b32 v0, v9 :: v_dual_mov_b32 v5, v40
	s_cbranch_scc1 .LBB11_48
.LBB11_49:                              ;   in Loop: Header=BB11_9 Depth=1
	s_cbranch_execnz .LBB11_52
.LBB11_50:                              ;   in Loop: Header=BB11_9 Depth=1
	v_mul_hi_u32 v0, v15, s6
	s_and_not1_b32 vcc_lo, exec_lo, s4
	s_delay_alu instid0(VALU_DEP_1) | instskip(NEXT) | instid1(VALU_DEP_1)
	v_add_nc_u32_e32 v0, v0, v15
	v_lshrrev_b32_e32 v0, s7, v0
	s_delay_alu instid0(VALU_DEP_1) | instskip(NEXT) | instid1(VALU_DEP_1)
	v_mul_lo_u32 v5, v0, s5
	v_sub_nc_u32_e32 v5, v15, v5
	s_delay_alu instid0(VALU_DEP_1)
	v_mul_lo_u32 v5, v5, s22
	s_cbranch_vccnz .LBB11_52
; %bb.51:                               ;   in Loop: Header=BB11_9 Depth=1
	v_mul_hi_u32 v9, s9, v0
	s_delay_alu instid0(VALU_DEP_1) | instskip(NEXT) | instid1(VALU_DEP_1)
	v_add_nc_u32_e32 v9, v0, v9
	v_lshrrev_b32_e32 v9, s10, v9
	s_delay_alu instid0(VALU_DEP_1) | instskip(NEXT) | instid1(VALU_DEP_1)
	v_mul_lo_u32 v9, v9, s8
	v_sub_nc_u32_e32 v0, v0, v9
	s_delay_alu instid0(VALU_DEP_1) | instskip(NEXT) | instid1(VALU_DEP_1)
	v_mad_u64_u32 v[15:16], null, v0, s23, v[5:6]
	v_mov_b32_e32 v5, v15
.LBB11_52:                              ;   in Loop: Header=BB11_9 Depth=1
	v_cvt_f32_u32_e32 v0, v6
                                        ; implicit-def: $vgpr15
	s_mov_b32 s1, exec_lo
	s_delay_alu instid0(VALU_DEP_1) | instskip(NEXT) | instid1(VALU_DEP_1)
	v_fmaak_f32 v0, 0x2f800000, v0, 0x2f800000
	v_cmp_nlt_f32_e32 vcc_lo, 0x3f7ffffe, v0
	v_cndmask_b32_e32 v0, 0x3f7ffffe, v0, vcc_lo
	s_delay_alu instid0(VALU_DEP_1) | instskip(SKIP_1) | instid1(VALU_DEP_1)
	v_cmp_ngt_f32_e32 vcc_lo, 0x34000000, v0
	v_cndmask_b32_e32 v0, 0x34000000, v0, vcc_lo
	v_add_f32_e32 v0, -0.5, v0
	s_delay_alu instid0(VALU_DEP_1) | instskip(NEXT) | instid1(VALU_DEP_1)
	v_mul_f32_e32 v6, 0x40490fdb, v0
                                        ; implicit-def: $vgpr0
	v_and_b32_e32 v9, 0x7fffffff, v6
	v_cmpx_ngt_f32_e64 0x48000000, |v6|
	s_xor_b32 s3, exec_lo, s1
	s_cbranch_execz .LBB11_54
; %bb.53:                               ;   in Loop: Header=BB11_9 Depth=1
	s_delay_alu instid0(VALU_DEP_2) | instskip(NEXT) | instid1(VALU_DEP_1)
	v_and_or_b32 v47, v9, s37, 0x800000
	v_mad_u64_u32 v[15:16], null, 0xfe5163ab, v47, 0
	s_delay_alu instid0(VALU_DEP_1) | instskip(SKIP_1) | instid1(VALU_DEP_2)
	v_mov_b32_e32 v0, v16
	v_lshrrev_b32_e32 v16, 23, v9
	v_mad_u64_u32 v[40:41], null, 0x3c439041, v47, v[0:1]
	s_delay_alu instid0(VALU_DEP_2) | instskip(NEXT) | instid1(VALU_DEP_1)
	v_add_nc_u32_e32 v16, 0xffffff88, v16
	v_cmp_lt_u32_e32 vcc_lo, 63, v16
	s_delay_alu instid0(VALU_DEP_3) | instskip(SKIP_1) | instid1(VALU_DEP_2)
	v_mov_b32_e32 v0, v41
	v_cndmask_b32_e64 v45, 0, 0xffffffc0, vcc_lo
	v_mad_u64_u32 v[41:42], null, 0xdb629599, v47, v[0:1]
	s_delay_alu instid0(VALU_DEP_2) | instskip(NEXT) | instid1(VALU_DEP_2)
	v_add_nc_u32_e32 v16, v45, v16
	v_mov_b32_e32 v0, v42
	s_delay_alu instid0(VALU_DEP_2) | instskip(NEXT) | instid1(VALU_DEP_4)
	v_cmp_lt_u32_e64 s0, 31, v16
	v_cndmask_b32_e32 v15, v41, v15, vcc_lo
	s_delay_alu instid0(VALU_DEP_3) | instskip(NEXT) | instid1(VALU_DEP_3)
	v_mad_u64_u32 v[42:43], null, 0xf534ddc0, v47, v[0:1]
	v_cndmask_b32_e64 v46, 0, 0xffffffe0, s0
	s_delay_alu instid0(VALU_DEP_1) | instskip(NEXT) | instid1(VALU_DEP_3)
	v_add_nc_u32_e32 v16, v46, v16
	v_mov_b32_e32 v0, v43
	s_delay_alu instid0(VALU_DEP_2) | instskip(NEXT) | instid1(VALU_DEP_2)
	v_cmp_lt_u32_e64 s1, 31, v16
	v_mad_u64_u32 v[43:44], null, 0xfc2757d1, v47, v[0:1]
	s_delay_alu instid0(VALU_DEP_1) | instskip(NEXT) | instid1(VALU_DEP_1)
	v_mov_b32_e32 v0, v44
	v_mad_u64_u32 v[44:45], null, 0x4e441529, v47, v[0:1]
	s_delay_alu instid0(VALU_DEP_1) | instskip(NEXT) | instid1(VALU_DEP_1)
	v_mov_b32_e32 v0, v45
	v_mad_u64_u32 v[45:46], null, 0xa2f9836e, v47, v[0:1]
	v_cndmask_b32_e64 v0, 0, 0xffffffe0, s1
	s_delay_alu instid0(VALU_DEP_4) | instskip(NEXT) | instid1(VALU_DEP_2)
	v_cndmask_b32_e32 v47, v44, v42, vcc_lo
	v_dual_cndmask_b32 v45, v45, v43 :: v_dual_add_nc_u32 v0, v0, v16
	s_delay_alu instid0(VALU_DEP_4) | instskip(SKIP_1) | instid1(VALU_DEP_3)
	v_dual_cndmask_b32 v44, v46, v44 :: v_dual_cndmask_b32 v43, v43, v41
	v_cndmask_b32_e32 v16, v42, v40, vcc_lo
	v_cmp_eq_u32_e64 s2, 0, v0
	s_delay_alu instid0(VALU_DEP_4) | instskip(NEXT) | instid1(VALU_DEP_4)
	v_cndmask_b32_e64 v40, v45, v47, s0
	v_cndmask_b32_e64 v42, v44, v45, s0
	;; [unrolled: 1-line block ×3, first 2 shown]
	v_sub_nc_u32_e32 v45, 32, v0
	v_cndmask_b32_e64 v43, v43, v16, s0
	v_cndmask_b32_e64 v15, v16, v15, s0
	;; [unrolled: 1-line block ×4, first 2 shown]
	s_delay_alu instid0(VALU_DEP_4) | instskip(NEXT) | instid1(VALU_DEP_4)
	v_cndmask_b32_e64 v44, v44, v43, s1
	v_cndmask_b32_e64 v15, v43, v15, s1
	s_delay_alu instid0(VALU_DEP_3) | instskip(NEXT) | instid1(VALU_DEP_3)
	v_alignbit_b32 v46, v42, v40, v45
	v_alignbit_b32 v47, v40, v44, v45
	s_delay_alu instid0(VALU_DEP_3) | instskip(NEXT) | instid1(VALU_DEP_3)
	v_alignbit_b32 v45, v44, v15, v45
	v_cndmask_b32_e64 v0, v46, v42, s2
	s_delay_alu instid0(VALU_DEP_3) | instskip(NEXT) | instid1(VALU_DEP_3)
	v_cndmask_b32_e64 v40, v47, v40, s2
	v_cndmask_b32_e64 v44, v45, v44, s2
	s_delay_alu instid0(VALU_DEP_3) | instskip(NEXT) | instid1(VALU_DEP_3)
	v_bfe_u32 v41, v0, 29, 1
	v_alignbit_b32 v16, v0, v40, 30
	s_delay_alu instid0(VALU_DEP_3) | instskip(SKIP_1) | instid1(VALU_DEP_4)
	v_alignbit_b32 v40, v40, v44, 30
	v_alignbit_b32 v15, v44, v15, 30
	v_sub_nc_u32_e32 v42, 0, v41
	s_delay_alu instid0(VALU_DEP_1) | instskip(SKIP_3) | instid1(VALU_DEP_4)
	v_xor_b32_e32 v43, v16, v42
	v_cmp_ne_u32_e32 vcc_lo, v16, v42
	v_xor_b32_e32 v40, v40, v42
	v_xor_b32_e32 v15, v15, v42
	v_clz_i32_u32_e32 v46, v43
	s_delay_alu instid0(VALU_DEP_1) | instskip(NEXT) | instid1(VALU_DEP_1)
	v_add_nc_u32_e32 v45, 1, v46
	v_cndmask_b32_e32 v16, 33, v45, vcc_lo
	s_delay_alu instid0(VALU_DEP_1) | instskip(NEXT) | instid1(VALU_DEP_1)
	v_sub_nc_u32_e32 v44, 32, v16
	v_alignbit_b32 v42, v43, v40, v44
	v_alignbit_b32 v15, v40, v15, v44
	v_lshrrev_b32_e32 v40, 29, v0
	s_delay_alu instid0(VALU_DEP_2) | instskip(NEXT) | instid1(VALU_DEP_2)
	v_alignbit_b32 v43, v42, v15, 9
	v_lshlrev_b32_e32 v40, 31, v40
	v_alignbit_b32 v42, v16, v42, 9
	s_delay_alu instid0(VALU_DEP_3) | instskip(NEXT) | instid1(VALU_DEP_2)
	v_clz_i32_u32_e32 v44, v43
	v_or_b32_e32 v42, v42, v40
	v_or_b32_e32 v40, 0x33800000, v40
	s_delay_alu instid0(VALU_DEP_3) | instskip(NEXT) | instid1(VALU_DEP_3)
	v_min_u32_e32 v44, 32, v44
	v_xor_b32_e32 v42, 1.0, v42
	s_delay_alu instid0(VALU_DEP_2) | instskip(SKIP_1) | instid1(VALU_DEP_3)
	v_sub_nc_u32_e32 v45, 31, v44
	v_add_lshl_u32 v16, v44, v16, 23
	v_mul_f32_e32 v44, 0x3fc90fda, v42
	s_delay_alu instid0(VALU_DEP_3) | instskip(NEXT) | instid1(VALU_DEP_3)
	v_alignbit_b32 v15, v43, v15, v45
	v_sub_nc_u32_e32 v16, v40, v16
	s_delay_alu instid0(VALU_DEP_3) | instskip(NEXT) | instid1(VALU_DEP_3)
	v_fma_f32 v40, 0x3fc90fda, v42, -v44
	v_lshrrev_b32_e32 v15, 9, v15
	s_delay_alu instid0(VALU_DEP_2) | instskip(NEXT) | instid1(VALU_DEP_2)
	v_fmac_f32_e32 v40, 0x33a22168, v42
	v_or_b32_e32 v15, v16, v15
	s_delay_alu instid0(VALU_DEP_1) | instskip(SKIP_1) | instid1(VALU_DEP_1)
	v_fmac_f32_e32 v40, 0x3fc90fda, v15
	v_lshrrev_b32_e32 v15, 30, v0
	v_dual_add_f32 v0, v44, v40 :: v_dual_add_nc_u32 v15, v41, v15
.LBB11_54:                              ;   in Loop: Header=BB11_9 Depth=1
	s_and_not1_saveexec_b32 s0, s3
; %bb.55:                               ;   in Loop: Header=BB11_9 Depth=1
	v_mul_f32_e64 v0, 0x3f22f983, |v6|
	s_delay_alu instid0(VALU_DEP_1) | instskip(NEXT) | instid1(VALU_DEP_1)
	v_rndne_f32_e32 v15, v0
	v_fma_f32 v0, 0xbfc90fda, v15, |v6|
	s_delay_alu instid0(VALU_DEP_1) | instskip(NEXT) | instid1(VALU_DEP_1)
	v_fmac_f32_e32 v0, 0xb3a22168, v15
	v_fmac_f32_e32 v0, 0xa7c234c4, v15
	v_cvt_i32_f32_e32 v15, v15
; %bb.56:                               ;   in Loop: Header=BB11_9 Depth=1
	s_or_b32 exec_lo, exec_lo, s0
	s_delay_alu instid0(VALU_DEP_1) | instskip(NEXT) | instid1(VALU_DEP_1)
	v_dual_mul_f32 v16, v0, v0 :: v_dual_and_b32 v15, 1, v15
	v_fmaak_f32 v40, s39, v16, 0xbf039337
	v_fmaak_f32 v41, s38, v16, 0x3ec54587
	s_delay_alu instid0(VALU_DEP_3) | instskip(NEXT) | instid1(VALU_DEP_3)
	v_cmp_eq_u32_e32 vcc_lo, 0, v15
	v_fmaak_f32 v40, v16, v40, 0x3f93f425
	s_delay_alu instid0(VALU_DEP_1) | instskip(SKIP_2) | instid1(VALU_DEP_1)
	v_rcp_f32_e32 v40, v40
	s_waitcnt_depctr 0xfff
	v_mul_f32_e32 v40, v41, v40
	v_mul_f32_e32 v16, v16, v40
	s_delay_alu instid0(VALU_DEP_1) | instskip(NEXT) | instid1(VALU_DEP_1)
	v_fma_f32 v40, v16, v0, v0
	v_rcp_f32_e32 v41, v40
	v_sub_f32_e32 v42, v40, v0
	s_delay_alu instid0(VALU_DEP_1) | instskip(SKIP_2) | instid1(VALU_DEP_1)
	v_fma_f32 v0, v16, v0, -v42
	s_waitcnt_depctr 0xfff
	v_fma_f32 v16, v40, -v41, 1.0
	v_fma_f32 v0, v0, -v41, v16
	s_delay_alu instid0(VALU_DEP_1) | instskip(NEXT) | instid1(VALU_DEP_1)
	v_fma_f32 v0, v0, -v41, -v41
	v_cndmask_b32_e32 v0, v0, v40, vcc_lo
	v_cmp_class_f32_e64 vcc_lo, v6, 0x1f8
	s_delay_alu instid0(VALU_DEP_2) | instskip(NEXT) | instid1(VALU_DEP_1)
	v_xor3_b32 v0, v9, v6, v0
	v_cndmask_b32_e32 v0, 0x7fc00000, v0, vcc_lo
	s_delay_alu instid0(VALU_DEP_1)
	v_fma_mixlo_f16 v0, s15, v0, s14
	global_store_b16 v5, v0, s[12:13]
.LBB11_57:                              ;   in Loop: Header=BB11_9 Depth=1
	s_or_b32 exec_lo, exec_lo, s40
	v_add_co_u32 v15, vcc_lo, v12, s31
	v_add_co_ci_u32_e32 v16, vcc_lo, 0, v13, vcc_lo
	s_mov_b32 s40, exec_lo
	s_delay_alu instid0(VALU_DEP_1)
	v_cmpx_gt_i64_e64 s[16:17], v[15:16]
	s_cbranch_execz .LBB11_76
; %bb.58:                               ;   in Loop: Header=BB11_9 Depth=1
	s_and_not1_b32 vcc_lo, exec_lo, s11
	s_cbranch_vccnz .LBB11_64
; %bb.59:                               ;   in Loop: Header=BB11_9 Depth=1
	v_mov_b32_e32 v5, 0
	s_and_not1_b32 vcc_lo, exec_lo, s30
	s_cbranch_vccnz .LBB11_68
; %bb.60:                               ;   in Loop: Header=BB11_9 Depth=1
	s_and_not1_b32 vcc_lo, exec_lo, s34
	s_mov_b32 s0, 0
	s_cbranch_vccnz .LBB11_65
; %bb.61:                               ;   in Loop: Header=BB11_9 Depth=1
	v_dual_mov_b32 v5, 0 :: v_dual_mov_b32 v0, v15
	s_mov_b32 s41, 0
	s_mov_b64 s[0:1], s[20:21]
	s_mov_b64 s[2:3], s[24:25]
.LBB11_62:                              ;   Parent Loop BB11_9 Depth=1
                                        ; =>  This Inner Loop Header: Depth=2
	s_clause 0x1
	s_load_b256 s[44:51], s[0:1], 0x4
	s_load_b128 s[52:55], s[0:1], 0x24
	s_load_b128 s[56:59], s[2:3], 0x0
	s_add_u32 s0, s0, 48
	s_addc_u32 s1, s1, 0
	s_add_i32 s41, s41, 4
	s_add_u32 s2, s2, 16
	s_addc_u32 s3, s3, 0
	s_cmp_eq_u32 s35, s41
	s_waitcnt lgkmcnt(0)
	v_mul_hi_u32 v6, s45, v0
	s_delay_alu instid0(VALU_DEP_1) | instskip(NEXT) | instid1(VALU_DEP_1)
	v_add_nc_u32_e32 v6, v0, v6
	v_lshrrev_b32_e32 v6, s46, v6
	s_delay_alu instid0(VALU_DEP_1) | instskip(SKIP_1) | instid1(VALU_DEP_2)
	v_mul_hi_u32 v9, s48, v6
	v_mul_lo_u32 v41, v6, s44
	v_add_nc_u32_e32 v9, v6, v9
	s_delay_alu instid0(VALU_DEP_2) | instskip(NEXT) | instid1(VALU_DEP_2)
	v_sub_nc_u32_e32 v41, v0, v41
	v_lshrrev_b32_e32 v9, s49, v9
	s_delay_alu instid0(VALU_DEP_2) | instskip(NEXT) | instid1(VALU_DEP_2)
	v_mul_lo_u32 v41, v41, s56
	v_mul_hi_u32 v16, s51, v9
	v_mul_lo_u32 v42, v9, s47
	s_delay_alu instid0(VALU_DEP_2) | instskip(NEXT) | instid1(VALU_DEP_2)
	v_add_nc_u32_e32 v16, v9, v16
	v_sub_nc_u32_e32 v6, v6, v42
	s_delay_alu instid0(VALU_DEP_2) | instskip(NEXT) | instid1(VALU_DEP_2)
	v_lshrrev_b32_e32 v16, s52, v16
	v_mul_lo_u32 v6, v6, s57
	s_delay_alu instid0(VALU_DEP_2) | instskip(NEXT) | instid1(VALU_DEP_2)
	v_mul_hi_u32 v40, s54, v16
	v_add3_u32 v5, v41, v5, v6
	s_delay_alu instid0(VALU_DEP_2) | instskip(NEXT) | instid1(VALU_DEP_1)
	v_add_nc_u32_e32 v40, v16, v40
	v_lshrrev_b32_e32 v0, s55, v40
	v_mul_lo_u32 v40, v16, s50
	s_delay_alu instid0(VALU_DEP_2) | instskip(NEXT) | instid1(VALU_DEP_2)
	v_mul_lo_u32 v43, v0, s53
	v_sub_nc_u32_e32 v9, v9, v40
	s_delay_alu instid0(VALU_DEP_2) | instskip(NEXT) | instid1(VALU_DEP_2)
	v_sub_nc_u32_e32 v16, v16, v43
	v_mul_lo_u32 v9, v9, s58
	s_delay_alu instid0(VALU_DEP_2) | instskip(NEXT) | instid1(VALU_DEP_1)
	v_mul_lo_u32 v16, v16, s59
	v_add3_u32 v5, v9, v5, v16
	s_cbranch_scc0 .LBB11_62
; %bb.63:                               ;   in Loop: Header=BB11_9 Depth=1
	s_mov_b32 s0, s35
	s_and_not1_b32 vcc_lo, exec_lo, s36
	s_cbranch_vccz .LBB11_66
	s_branch .LBB11_68
.LBB11_64:                              ;   in Loop: Header=BB11_9 Depth=1
                                        ; implicit-def: $vgpr5
	s_branch .LBB11_69
.LBB11_65:                              ;   in Loop: Header=BB11_9 Depth=1
	v_mov_b32_e32 v0, v15
	s_and_not1_b32 vcc_lo, exec_lo, s36
	s_cbranch_vccnz .LBB11_68
.LBB11_66:                              ;   in Loop: Header=BB11_9 Depth=1
	s_lshl_b32 s1, s0, 2
	s_mul_i32 s2, s0, 12
	s_add_u32 s0, s24, s1
	s_addc_u32 s1, s25, 0
	s_add_u32 s2, s20, s2
	s_addc_u32 s3, s21, 0
	s_mov_b32 s41, s33
	.p2align	6
.LBB11_67:                              ;   Parent Loop BB11_9 Depth=1
                                        ; =>  This Inner Loop Header: Depth=2
	s_clause 0x1
	s_load_b64 s[42:43], s[2:3], 0x4
	s_load_b32 s44, s[2:3], 0xc
	s_add_u32 s2, s2, 12
	s_addc_u32 s3, s3, 0
	s_waitcnt lgkmcnt(0)
	v_mul_hi_u32 v6, s43, v0
	s_load_b32 s43, s[0:1], 0x0
	s_add_u32 s0, s0, 4
	s_addc_u32 s1, s1, 0
	s_add_i32 s41, s41, -1
	s_delay_alu instid0(SALU_CYCLE_1) | instskip(NEXT) | instid1(VALU_DEP_1)
	s_cmp_lg_u32 s41, 0
	v_add_nc_u32_e32 v6, v0, v6
	s_delay_alu instid0(VALU_DEP_1) | instskip(NEXT) | instid1(VALU_DEP_1)
	v_lshrrev_b32_e32 v6, s44, v6
	v_mul_lo_u32 v9, v6, s42
	s_delay_alu instid0(VALU_DEP_1) | instskip(SKIP_1) | instid1(VALU_DEP_1)
	v_sub_nc_u32_e32 v0, v0, v9
	s_waitcnt lgkmcnt(0)
	v_mad_u64_u32 v[40:41], null, v0, s43, v[5:6]
	s_delay_alu instid0(VALU_DEP_1)
	v_dual_mov_b32 v0, v6 :: v_dual_mov_b32 v5, v40
	s_cbranch_scc1 .LBB11_67
.LBB11_68:                              ;   in Loop: Header=BB11_9 Depth=1
	s_cbranch_execnz .LBB11_71
.LBB11_69:                              ;   in Loop: Header=BB11_9 Depth=1
	v_mul_hi_u32 v0, v15, s6
	s_and_not1_b32 vcc_lo, exec_lo, s4
	s_delay_alu instid0(VALU_DEP_1) | instskip(NEXT) | instid1(VALU_DEP_1)
	v_add_nc_u32_e32 v0, v0, v15
	v_lshrrev_b32_e32 v0, s7, v0
	s_delay_alu instid0(VALU_DEP_1) | instskip(NEXT) | instid1(VALU_DEP_1)
	v_mul_lo_u32 v5, v0, s5
	v_sub_nc_u32_e32 v5, v15, v5
	s_delay_alu instid0(VALU_DEP_1)
	v_mul_lo_u32 v5, v5, s22
	s_cbranch_vccnz .LBB11_71
; %bb.70:                               ;   in Loop: Header=BB11_9 Depth=1
	v_mul_hi_u32 v6, s9, v0
	s_delay_alu instid0(VALU_DEP_1) | instskip(NEXT) | instid1(VALU_DEP_1)
	v_add_nc_u32_e32 v6, v0, v6
	v_lshrrev_b32_e32 v6, s10, v6
	s_delay_alu instid0(VALU_DEP_1) | instskip(NEXT) | instid1(VALU_DEP_1)
	v_mul_lo_u32 v6, v6, s8
	v_sub_nc_u32_e32 v0, v0, v6
	s_delay_alu instid0(VALU_DEP_1) | instskip(NEXT) | instid1(VALU_DEP_1)
	v_mad_u64_u32 v[15:16], null, v0, s23, v[5:6]
	v_mov_b32_e32 v5, v15
.LBB11_71:                              ;   in Loop: Header=BB11_9 Depth=1
	v_cvt_f32_u32_e32 v0, v7
                                        ; implicit-def: $vgpr9
	s_mov_b32 s1, exec_lo
	s_delay_alu instid0(VALU_DEP_1) | instskip(NEXT) | instid1(VALU_DEP_1)
	v_fmaak_f32 v0, 0x2f800000, v0, 0x2f800000
	v_cmp_nlt_f32_e32 vcc_lo, 0x3f7ffffe, v0
	v_cndmask_b32_e32 v0, 0x3f7ffffe, v0, vcc_lo
	s_delay_alu instid0(VALU_DEP_1) | instskip(SKIP_1) | instid1(VALU_DEP_1)
	v_cmp_ngt_f32_e32 vcc_lo, 0x34000000, v0
	v_cndmask_b32_e32 v0, 0x34000000, v0, vcc_lo
	v_add_f32_e32 v0, -0.5, v0
	s_delay_alu instid0(VALU_DEP_1) | instskip(NEXT) | instid1(VALU_DEP_1)
	v_mul_f32_e32 v6, 0x40490fdb, v0
                                        ; implicit-def: $vgpr0
	v_and_b32_e32 v7, 0x7fffffff, v6
	v_cmpx_ngt_f32_e64 0x48000000, |v6|
	s_xor_b32 s3, exec_lo, s1
	s_cbranch_execz .LBB11_73
; %bb.72:                               ;   in Loop: Header=BB11_9 Depth=1
	s_delay_alu instid0(VALU_DEP_2) | instskip(NEXT) | instid1(VALU_DEP_1)
	v_and_or_b32 v9, v7, s37, 0x800000
	v_mad_u64_u32 v[15:16], null, 0xfe5163ab, v9, 0
	s_delay_alu instid0(VALU_DEP_1) | instskip(SKIP_1) | instid1(VALU_DEP_2)
	v_mov_b32_e32 v0, v16
	v_lshrrev_b32_e32 v16, 23, v7
	v_mad_u64_u32 v[40:41], null, 0x3c439041, v9, v[0:1]
	s_delay_alu instid0(VALU_DEP_2) | instskip(NEXT) | instid1(VALU_DEP_1)
	v_add_nc_u32_e32 v16, 0xffffff88, v16
	v_cmp_lt_u32_e32 vcc_lo, 63, v16
	s_delay_alu instid0(VALU_DEP_3) | instskip(SKIP_1) | instid1(VALU_DEP_2)
	v_mov_b32_e32 v0, v41
	v_cndmask_b32_e64 v45, 0, 0xffffffc0, vcc_lo
	v_mad_u64_u32 v[41:42], null, 0xdb629599, v9, v[0:1]
	s_delay_alu instid0(VALU_DEP_2) | instskip(NEXT) | instid1(VALU_DEP_2)
	v_add_nc_u32_e32 v16, v45, v16
	v_mov_b32_e32 v0, v42
	s_delay_alu instid0(VALU_DEP_2) | instskip(NEXT) | instid1(VALU_DEP_4)
	v_cmp_lt_u32_e64 s0, 31, v16
	v_cndmask_b32_e32 v15, v41, v15, vcc_lo
	s_delay_alu instid0(VALU_DEP_3) | instskip(NEXT) | instid1(VALU_DEP_3)
	v_mad_u64_u32 v[42:43], null, 0xf534ddc0, v9, v[0:1]
	v_cndmask_b32_e64 v46, 0, 0xffffffe0, s0
	s_delay_alu instid0(VALU_DEP_1) | instskip(NEXT) | instid1(VALU_DEP_3)
	v_add_nc_u32_e32 v16, v46, v16
	v_mov_b32_e32 v0, v43
	s_delay_alu instid0(VALU_DEP_2) | instskip(NEXT) | instid1(VALU_DEP_2)
	v_cmp_lt_u32_e64 s1, 31, v16
	v_mad_u64_u32 v[43:44], null, 0xfc2757d1, v9, v[0:1]
	s_delay_alu instid0(VALU_DEP_1) | instskip(NEXT) | instid1(VALU_DEP_1)
	v_mov_b32_e32 v0, v44
	v_mad_u64_u32 v[44:45], null, 0x4e441529, v9, v[0:1]
	s_delay_alu instid0(VALU_DEP_1) | instskip(NEXT) | instid1(VALU_DEP_1)
	v_mov_b32_e32 v0, v45
	v_mad_u64_u32 v[45:46], null, 0xa2f9836e, v9, v[0:1]
	v_cndmask_b32_e64 v0, 0, 0xffffffe0, s1
	s_delay_alu instid0(VALU_DEP_4) | instskip(NEXT) | instid1(VALU_DEP_2)
	v_cndmask_b32_e32 v9, v44, v42, vcc_lo
	v_dual_cndmask_b32 v45, v45, v43 :: v_dual_add_nc_u32 v0, v0, v16
	s_delay_alu instid0(VALU_DEP_4) | instskip(SKIP_1) | instid1(VALU_DEP_3)
	v_dual_cndmask_b32 v44, v46, v44 :: v_dual_cndmask_b32 v43, v43, v41
	v_cndmask_b32_e32 v16, v42, v40, vcc_lo
	v_cmp_eq_u32_e64 s2, 0, v0
	s_delay_alu instid0(VALU_DEP_4) | instskip(NEXT) | instid1(VALU_DEP_4)
	v_cndmask_b32_e64 v40, v45, v9, s0
	v_cndmask_b32_e64 v42, v44, v45, s0
	;; [unrolled: 1-line block ×3, first 2 shown]
	v_sub_nc_u32_e32 v44, 32, v0
	v_cndmask_b32_e64 v43, v43, v16, s0
	v_cndmask_b32_e64 v15, v16, v15, s0
	;; [unrolled: 1-line block ×4, first 2 shown]
	s_delay_alu instid0(VALU_DEP_4) | instskip(NEXT) | instid1(VALU_DEP_4)
	v_cndmask_b32_e64 v9, v9, v43, s1
	v_cndmask_b32_e64 v15, v43, v15, s1
	s_delay_alu instid0(VALU_DEP_3) | instskip(NEXT) | instid1(VALU_DEP_3)
	v_alignbit_b32 v45, v42, v40, v44
	v_alignbit_b32 v46, v40, v9, v44
	s_delay_alu instid0(VALU_DEP_3) | instskip(NEXT) | instid1(VALU_DEP_3)
	v_alignbit_b32 v44, v9, v15, v44
	v_cndmask_b32_e64 v0, v45, v42, s2
	s_delay_alu instid0(VALU_DEP_3) | instskip(NEXT) | instid1(VALU_DEP_3)
	v_cndmask_b32_e64 v40, v46, v40, s2
	v_cndmask_b32_e64 v9, v44, v9, s2
	s_delay_alu instid0(VALU_DEP_3) | instskip(NEXT) | instid1(VALU_DEP_3)
	v_bfe_u32 v41, v0, 29, 1
	v_alignbit_b32 v16, v0, v40, 30
	s_delay_alu instid0(VALU_DEP_3) | instskip(SKIP_1) | instid1(VALU_DEP_4)
	v_alignbit_b32 v40, v40, v9, 30
	v_alignbit_b32 v9, v9, v15, 30
	v_sub_nc_u32_e32 v42, 0, v41
	s_delay_alu instid0(VALU_DEP_1) | instskip(SKIP_3) | instid1(VALU_DEP_4)
	v_xor_b32_e32 v43, v16, v42
	v_cmp_ne_u32_e32 vcc_lo, v16, v42
	v_xor_b32_e32 v15, v40, v42
	v_xor_b32_e32 v9, v9, v42
	v_clz_i32_u32_e32 v45, v43
	s_delay_alu instid0(VALU_DEP_1) | instskip(NEXT) | instid1(VALU_DEP_1)
	v_add_nc_u32_e32 v44, 1, v45
	v_cndmask_b32_e32 v16, 33, v44, vcc_lo
	s_delay_alu instid0(VALU_DEP_1) | instskip(NEXT) | instid1(VALU_DEP_1)
	v_sub_nc_u32_e32 v40, 32, v16
	v_alignbit_b32 v42, v43, v15, v40
	v_alignbit_b32 v9, v15, v9, v40
	v_lshrrev_b32_e32 v15, 29, v0
	s_delay_alu instid0(VALU_DEP_2) | instskip(NEXT) | instid1(VALU_DEP_2)
	v_alignbit_b32 v40, v42, v9, 9
	v_lshlrev_b32_e32 v15, 31, v15
	v_alignbit_b32 v42, v16, v42, 9
	s_delay_alu instid0(VALU_DEP_3) | instskip(NEXT) | instid1(VALU_DEP_2)
	v_clz_i32_u32_e32 v43, v40
	v_or_b32_e32 v42, v42, v15
	v_or_b32_e32 v15, 0x33800000, v15
	s_delay_alu instid0(VALU_DEP_3) | instskip(NEXT) | instid1(VALU_DEP_3)
	v_min_u32_e32 v43, 32, v43
	v_xor_b32_e32 v42, 1.0, v42
	s_delay_alu instid0(VALU_DEP_2) | instskip(SKIP_1) | instid1(VALU_DEP_3)
	v_sub_nc_u32_e32 v44, 31, v43
	v_add_lshl_u32 v16, v43, v16, 23
	v_mul_f32_e32 v43, 0x3fc90fda, v42
	s_delay_alu instid0(VALU_DEP_3) | instskip(NEXT) | instid1(VALU_DEP_3)
	v_alignbit_b32 v9, v40, v9, v44
	v_sub_nc_u32_e32 v15, v15, v16
	s_delay_alu instid0(VALU_DEP_3) | instskip(NEXT) | instid1(VALU_DEP_3)
	v_fma_f32 v16, 0x3fc90fda, v42, -v43
	v_lshrrev_b32_e32 v9, 9, v9
	s_delay_alu instid0(VALU_DEP_2) | instskip(NEXT) | instid1(VALU_DEP_2)
	v_fmac_f32_e32 v16, 0x33a22168, v42
	v_or_b32_e32 v9, v15, v9
	s_delay_alu instid0(VALU_DEP_1) | instskip(SKIP_1) | instid1(VALU_DEP_1)
	v_fmac_f32_e32 v16, 0x3fc90fda, v9
	v_lshrrev_b32_e32 v9, 30, v0
	v_dual_add_f32 v0, v43, v16 :: v_dual_add_nc_u32 v9, v41, v9
.LBB11_73:                              ;   in Loop: Header=BB11_9 Depth=1
	s_and_not1_saveexec_b32 s0, s3
; %bb.74:                               ;   in Loop: Header=BB11_9 Depth=1
	v_mul_f32_e64 v0, 0x3f22f983, |v6|
	s_delay_alu instid0(VALU_DEP_1) | instskip(NEXT) | instid1(VALU_DEP_1)
	v_rndne_f32_e32 v9, v0
	v_fma_f32 v0, 0xbfc90fda, v9, |v6|
	s_delay_alu instid0(VALU_DEP_1) | instskip(NEXT) | instid1(VALU_DEP_1)
	v_fmac_f32_e32 v0, 0xb3a22168, v9
	v_fmac_f32_e32 v0, 0xa7c234c4, v9
	v_cvt_i32_f32_e32 v9, v9
; %bb.75:                               ;   in Loop: Header=BB11_9 Depth=1
	s_or_b32 exec_lo, exec_lo, s0
	s_delay_alu instid0(VALU_DEP_2) | instskip(NEXT) | instid1(VALU_DEP_1)
	v_mul_f32_e32 v15, v0, v0
	v_dual_fmaak_f32 v16, s39, v15, 0xbf039337 :: v_dual_and_b32 v9, 1, v9
	v_fmaak_f32 v40, s38, v15, 0x3ec54587
	s_delay_alu instid0(VALU_DEP_2) | instskip(NEXT) | instid1(VALU_DEP_3)
	v_cmp_eq_u32_e32 vcc_lo, 0, v9
	v_fmaak_f32 v16, v15, v16, 0x3f93f425
	s_delay_alu instid0(VALU_DEP_1) | instskip(SKIP_2) | instid1(VALU_DEP_1)
	v_rcp_f32_e32 v16, v16
	s_waitcnt_depctr 0xfff
	v_mul_f32_e32 v16, v40, v16
	v_mul_f32_e32 v15, v15, v16
	s_delay_alu instid0(VALU_DEP_1) | instskip(NEXT) | instid1(VALU_DEP_1)
	v_fma_f32 v16, v15, v0, v0
	v_rcp_f32_e32 v40, v16
	v_sub_f32_e32 v41, v16, v0
	s_delay_alu instid0(VALU_DEP_1) | instskip(SKIP_2) | instid1(VALU_DEP_1)
	v_fma_f32 v0, v15, v0, -v41
	s_waitcnt_depctr 0xfff
	v_fma_f32 v15, v16, -v40, 1.0
	v_fma_f32 v0, v0, -v40, v15
	s_delay_alu instid0(VALU_DEP_1) | instskip(NEXT) | instid1(VALU_DEP_1)
	v_fma_f32 v0, v0, -v40, -v40
	v_cndmask_b32_e32 v0, v0, v16, vcc_lo
	v_cmp_class_f32_e64 vcc_lo, v6, 0x1f8
	s_delay_alu instid0(VALU_DEP_2) | instskip(NEXT) | instid1(VALU_DEP_1)
	v_xor3_b32 v0, v7, v6, v0
	v_cndmask_b32_e32 v0, 0x7fc00000, v0, vcc_lo
	s_delay_alu instid0(VALU_DEP_1)
	v_fma_mixlo_f16 v0, s15, v0, s14
	global_store_b16 v5, v0, s[12:13]
.LBB11_76:                              ;   in Loop: Header=BB11_9 Depth=1
	s_or_b32 exec_lo, exec_lo, s40
	v_add_co_u32 v6, vcc_lo, v12, s29
	v_add_co_ci_u32_e32 v7, vcc_lo, 0, v13, vcc_lo
	s_mov_b32 s40, exec_lo
	s_delay_alu instid0(VALU_DEP_1)
	v_cmpx_gt_i64_e64 s[16:17], v[6:7]
	s_cbranch_execz .LBB11_8
; %bb.77:                               ;   in Loop: Header=BB11_9 Depth=1
	s_and_not1_b32 vcc_lo, exec_lo, s11
	s_cbranch_vccnz .LBB11_83
; %bb.78:                               ;   in Loop: Header=BB11_9 Depth=1
	v_mov_b32_e32 v5, 0
	s_and_not1_b32 vcc_lo, exec_lo, s30
	s_cbranch_vccnz .LBB11_87
; %bb.79:                               ;   in Loop: Header=BB11_9 Depth=1
	s_and_not1_b32 vcc_lo, exec_lo, s34
	s_mov_b32 s0, 0
	s_cbranch_vccnz .LBB11_84
; %bb.80:                               ;   in Loop: Header=BB11_9 Depth=1
	v_dual_mov_b32 v5, 0 :: v_dual_mov_b32 v0, v6
	s_mov_b32 s41, 0
	s_mov_b64 s[0:1], s[20:21]
	s_mov_b64 s[2:3], s[24:25]
.LBB11_81:                              ;   Parent Loop BB11_9 Depth=1
                                        ; =>  This Inner Loop Header: Depth=2
	s_clause 0x1
	s_load_b256 s[44:51], s[0:1], 0x4
	s_load_b128 s[52:55], s[0:1], 0x24
	s_load_b128 s[56:59], s[2:3], 0x0
	s_add_u32 s0, s0, 48
	s_addc_u32 s1, s1, 0
	s_add_i32 s41, s41, 4
	s_add_u32 s2, s2, 16
	s_addc_u32 s3, s3, 0
	s_cmp_eq_u32 s35, s41
	s_waitcnt lgkmcnt(0)
	v_mul_hi_u32 v7, s45, v0
	s_delay_alu instid0(VALU_DEP_1) | instskip(NEXT) | instid1(VALU_DEP_1)
	v_add_nc_u32_e32 v7, v0, v7
	v_lshrrev_b32_e32 v7, s46, v7
	s_delay_alu instid0(VALU_DEP_1) | instskip(SKIP_1) | instid1(VALU_DEP_2)
	v_mul_hi_u32 v9, s48, v7
	v_mul_lo_u32 v40, v7, s44
	v_add_nc_u32_e32 v9, v7, v9
	s_delay_alu instid0(VALU_DEP_2) | instskip(NEXT) | instid1(VALU_DEP_2)
	v_sub_nc_u32_e32 v40, v0, v40
	v_lshrrev_b32_e32 v9, s49, v9
	s_delay_alu instid0(VALU_DEP_2) | instskip(NEXT) | instid1(VALU_DEP_2)
	v_mul_lo_u32 v40, v40, s56
	v_mul_hi_u32 v15, s51, v9
	v_mul_lo_u32 v41, v9, s47
	s_delay_alu instid0(VALU_DEP_2) | instskip(NEXT) | instid1(VALU_DEP_2)
	v_add_nc_u32_e32 v15, v9, v15
	v_sub_nc_u32_e32 v7, v7, v41
	s_delay_alu instid0(VALU_DEP_2) | instskip(NEXT) | instid1(VALU_DEP_2)
	v_lshrrev_b32_e32 v15, s52, v15
	v_mul_lo_u32 v7, v7, s57
	s_delay_alu instid0(VALU_DEP_2) | instskip(NEXT) | instid1(VALU_DEP_2)
	v_mul_hi_u32 v16, s54, v15
	v_add3_u32 v5, v40, v5, v7
	s_delay_alu instid0(VALU_DEP_2) | instskip(NEXT) | instid1(VALU_DEP_1)
	v_add_nc_u32_e32 v16, v15, v16
	v_lshrrev_b32_e32 v0, s55, v16
	v_mul_lo_u32 v16, v15, s50
	s_delay_alu instid0(VALU_DEP_2) | instskip(NEXT) | instid1(VALU_DEP_2)
	v_mul_lo_u32 v42, v0, s53
	v_sub_nc_u32_e32 v9, v9, v16
	s_delay_alu instid0(VALU_DEP_2) | instskip(NEXT) | instid1(VALU_DEP_2)
	v_sub_nc_u32_e32 v15, v15, v42
	v_mul_lo_u32 v9, v9, s58
	s_delay_alu instid0(VALU_DEP_2) | instskip(NEXT) | instid1(VALU_DEP_1)
	v_mul_lo_u32 v15, v15, s59
	v_add3_u32 v5, v9, v5, v15
	s_cbranch_scc0 .LBB11_81
; %bb.82:                               ;   in Loop: Header=BB11_9 Depth=1
	s_mov_b32 s0, s35
	s_and_not1_b32 vcc_lo, exec_lo, s36
	s_cbranch_vccz .LBB11_85
	s_branch .LBB11_87
.LBB11_83:                              ;   in Loop: Header=BB11_9 Depth=1
                                        ; implicit-def: $vgpr5
	s_branch .LBB11_88
.LBB11_84:                              ;   in Loop: Header=BB11_9 Depth=1
	v_mov_b32_e32 v0, v6
	s_and_not1_b32 vcc_lo, exec_lo, s36
	s_cbranch_vccnz .LBB11_87
.LBB11_85:                              ;   in Loop: Header=BB11_9 Depth=1
	s_lshl_b32 s1, s0, 2
	s_mul_i32 s2, s0, 12
	s_add_u32 s0, s24, s1
	s_addc_u32 s1, s25, 0
	s_add_u32 s2, s20, s2
	s_addc_u32 s3, s21, 0
	s_mov_b32 s41, s33
	.p2align	6
.LBB11_86:                              ;   Parent Loop BB11_9 Depth=1
                                        ; =>  This Inner Loop Header: Depth=2
	s_clause 0x1
	s_load_b64 s[42:43], s[2:3], 0x4
	s_load_b32 s44, s[2:3], 0xc
	s_add_u32 s2, s2, 12
	s_addc_u32 s3, s3, 0
	s_waitcnt lgkmcnt(0)
	v_mul_hi_u32 v7, s43, v0
	s_load_b32 s43, s[0:1], 0x0
	s_add_u32 s0, s0, 4
	s_addc_u32 s1, s1, 0
	s_add_i32 s41, s41, -1
	s_delay_alu instid0(SALU_CYCLE_1) | instskip(NEXT) | instid1(VALU_DEP_1)
	s_cmp_lg_u32 s41, 0
	v_add_nc_u32_e32 v7, v0, v7
	s_delay_alu instid0(VALU_DEP_1) | instskip(NEXT) | instid1(VALU_DEP_1)
	v_lshrrev_b32_e32 v7, s44, v7
	v_mul_lo_u32 v9, v7, s42
	s_delay_alu instid0(VALU_DEP_1) | instskip(SKIP_1) | instid1(VALU_DEP_1)
	v_sub_nc_u32_e32 v0, v0, v9
	s_waitcnt lgkmcnt(0)
	v_mad_u64_u32 v[15:16], null, v0, s43, v[5:6]
	v_mov_b32_e32 v0, v7
	s_delay_alu instid0(VALU_DEP_2)
	v_mov_b32_e32 v5, v15
	s_cbranch_scc1 .LBB11_86
.LBB11_87:                              ;   in Loop: Header=BB11_9 Depth=1
	s_cbranch_execnz .LBB11_90
.LBB11_88:                              ;   in Loop: Header=BB11_9 Depth=1
	v_mul_hi_u32 v0, v6, s6
	s_and_not1_b32 vcc_lo, exec_lo, s4
	s_delay_alu instid0(VALU_DEP_1) | instskip(NEXT) | instid1(VALU_DEP_1)
	v_add_nc_u32_e32 v0, v0, v6
	v_lshrrev_b32_e32 v0, s7, v0
	s_delay_alu instid0(VALU_DEP_1) | instskip(NEXT) | instid1(VALU_DEP_1)
	v_mul_lo_u32 v5, v0, s5
	v_sub_nc_u32_e32 v5, v6, v5
	s_delay_alu instid0(VALU_DEP_1)
	v_mul_lo_u32 v5, v5, s22
	s_cbranch_vccnz .LBB11_90
; %bb.89:                               ;   in Loop: Header=BB11_9 Depth=1
	v_mul_hi_u32 v6, s9, v0
	s_delay_alu instid0(VALU_DEP_1) | instskip(NEXT) | instid1(VALU_DEP_1)
	v_add_nc_u32_e32 v6, v0, v6
	v_lshrrev_b32_e32 v6, s10, v6
	s_delay_alu instid0(VALU_DEP_1) | instskip(NEXT) | instid1(VALU_DEP_1)
	v_mul_lo_u32 v6, v6, s8
	v_sub_nc_u32_e32 v0, v0, v6
	s_delay_alu instid0(VALU_DEP_1) | instskip(NEXT) | instid1(VALU_DEP_1)
	v_mad_u64_u32 v[6:7], null, v0, s23, v[5:6]
	v_mov_b32_e32 v5, v6
.LBB11_90:                              ;   in Loop: Header=BB11_9 Depth=1
	v_cvt_f32_u32_e32 v0, v8
                                        ; implicit-def: $vgpr8
	s_mov_b32 s1, exec_lo
	s_delay_alu instid0(VALU_DEP_1) | instskip(NEXT) | instid1(VALU_DEP_1)
	v_fmaak_f32 v0, 0x2f800000, v0, 0x2f800000
	v_cmp_nlt_f32_e32 vcc_lo, 0x3f7ffffe, v0
	v_cndmask_b32_e32 v0, 0x3f7ffffe, v0, vcc_lo
	s_delay_alu instid0(VALU_DEP_1) | instskip(SKIP_1) | instid1(VALU_DEP_1)
	v_cmp_ngt_f32_e32 vcc_lo, 0x34000000, v0
	v_cndmask_b32_e32 v0, 0x34000000, v0, vcc_lo
	v_add_f32_e32 v0, -0.5, v0
	s_delay_alu instid0(VALU_DEP_1) | instskip(NEXT) | instid1(VALU_DEP_1)
	v_mul_f32_e32 v6, 0x40490fdb, v0
                                        ; implicit-def: $vgpr0
	v_and_b32_e32 v7, 0x7fffffff, v6
	v_cmpx_ngt_f32_e64 0x48000000, |v6|
	s_xor_b32 s3, exec_lo, s1
	s_cbranch_execz .LBB11_92
; %bb.91:                               ;   in Loop: Header=BB11_9 Depth=1
	s_delay_alu instid0(VALU_DEP_2) | instskip(NEXT) | instid1(VALU_DEP_1)
	v_and_or_b32 v46, v7, s37, 0x800000
	v_mad_u64_u32 v[8:9], null, 0xfe5163ab, v46, 0
	s_delay_alu instid0(VALU_DEP_1) | instskip(SKIP_1) | instid1(VALU_DEP_1)
	v_mov_b32_e32 v0, v9
	v_lshrrev_b32_e32 v9, 23, v7
	v_add_nc_u32_e32 v9, 0xffffff88, v9
	s_delay_alu instid0(VALU_DEP_3) | instskip(NEXT) | instid1(VALU_DEP_2)
	v_mad_u64_u32 v[15:16], null, 0x3c439041, v46, v[0:1]
	v_cmp_lt_u32_e32 vcc_lo, 63, v9
	s_delay_alu instid0(VALU_DEP_2) | instskip(SKIP_1) | instid1(VALU_DEP_2)
	v_mov_b32_e32 v0, v16
	v_cndmask_b32_e64 v16, 0, 0xffffffc0, vcc_lo
	v_mad_u64_u32 v[40:41], null, 0xdb629599, v46, v[0:1]
	s_delay_alu instid0(VALU_DEP_2) | instskip(NEXT) | instid1(VALU_DEP_1)
	v_add_nc_u32_e32 v9, v16, v9
	v_cmp_lt_u32_e64 s0, 31, v9
	s_delay_alu instid0(VALU_DEP_3) | instskip(NEXT) | instid1(VALU_DEP_4)
	v_mov_b32_e32 v0, v41
	v_cndmask_b32_e32 v8, v40, v8, vcc_lo
	s_delay_alu instid0(VALU_DEP_3) | instskip(NEXT) | instid1(VALU_DEP_3)
	v_cndmask_b32_e64 v16, 0, 0xffffffe0, s0
	v_mad_u64_u32 v[41:42], null, 0xf534ddc0, v46, v[0:1]
	s_delay_alu instid0(VALU_DEP_1) | instskip(NEXT) | instid1(VALU_DEP_1)
	v_dual_mov_b32 v0, v42 :: v_dual_add_nc_u32 v9, v16, v9
	v_cmp_lt_u32_e64 s1, 31, v9
	s_delay_alu instid0(VALU_DEP_2) | instskip(NEXT) | instid1(VALU_DEP_1)
	v_mad_u64_u32 v[42:43], null, 0xfc2757d1, v46, v[0:1]
	v_mov_b32_e32 v0, v43
	s_delay_alu instid0(VALU_DEP_1) | instskip(NEXT) | instid1(VALU_DEP_1)
	v_mad_u64_u32 v[43:44], null, 0x4e441529, v46, v[0:1]
	v_mov_b32_e32 v0, v44
	s_delay_alu instid0(VALU_DEP_2) | instskip(NEXT) | instid1(VALU_DEP_2)
	v_cndmask_b32_e32 v16, v43, v41, vcc_lo
	v_mad_u64_u32 v[44:45], null, 0xa2f9836e, v46, v[0:1]
	v_cndmask_b32_e64 v0, 0, 0xffffffe0, s1
	s_delay_alu instid0(VALU_DEP_1) | instskip(NEXT) | instid1(VALU_DEP_3)
	v_add_nc_u32_e32 v0, v0, v9
	v_dual_cndmask_b32 v44, v44, v42 :: v_dual_cndmask_b32 v43, v45, v43
	v_dual_cndmask_b32 v42, v42, v40 :: v_dual_cndmask_b32 v9, v41, v15
	s_delay_alu instid0(VALU_DEP_3) | instskip(NEXT) | instid1(VALU_DEP_3)
	v_cmp_eq_u32_e64 s2, 0, v0
	v_cndmask_b32_e64 v15, v44, v16, s0
	s_delay_alu instid0(VALU_DEP_4) | instskip(NEXT) | instid1(VALU_DEP_4)
	v_cndmask_b32_e64 v41, v43, v44, s0
	v_cndmask_b32_e64 v16, v16, v42, s0
	v_sub_nc_u32_e32 v43, 32, v0
	v_cndmask_b32_e64 v42, v42, v9, s0
	v_cndmask_b32_e64 v8, v9, v8, s0
	;; [unrolled: 1-line block ×4, first 2 shown]
	s_delay_alu instid0(VALU_DEP_4) | instskip(NEXT) | instid1(VALU_DEP_4)
	v_cndmask_b32_e64 v16, v16, v42, s1
	v_cndmask_b32_e64 v8, v42, v8, s1
	s_delay_alu instid0(VALU_DEP_3) | instskip(NEXT) | instid1(VALU_DEP_3)
	v_alignbit_b32 v44, v41, v15, v43
	v_alignbit_b32 v45, v15, v16, v43
	s_delay_alu instid0(VALU_DEP_3) | instskip(NEXT) | instid1(VALU_DEP_3)
	v_alignbit_b32 v43, v16, v8, v43
	v_cndmask_b32_e64 v0, v44, v41, s2
	s_delay_alu instid0(VALU_DEP_3) | instskip(NEXT) | instid1(VALU_DEP_3)
	v_cndmask_b32_e64 v15, v45, v15, s2
	v_cndmask_b32_e64 v16, v43, v16, s2
	s_delay_alu instid0(VALU_DEP_3) | instskip(NEXT) | instid1(VALU_DEP_3)
	v_bfe_u32 v40, v0, 29, 1
	v_alignbit_b32 v9, v0, v15, 30
	s_delay_alu instid0(VALU_DEP_3) | instskip(SKIP_1) | instid1(VALU_DEP_4)
	v_alignbit_b32 v15, v15, v16, 30
	v_alignbit_b32 v8, v16, v8, 30
	v_sub_nc_u32_e32 v41, 0, v40
	s_delay_alu instid0(VALU_DEP_1) | instskip(SKIP_3) | instid1(VALU_DEP_4)
	v_xor_b32_e32 v42, v9, v41
	v_cmp_ne_u32_e32 vcc_lo, v9, v41
	v_xor_b32_e32 v15, v15, v41
	v_xor_b32_e32 v8, v8, v41
	v_clz_i32_u32_e32 v44, v42
	s_delay_alu instid0(VALU_DEP_1) | instskip(NEXT) | instid1(VALU_DEP_1)
	v_add_nc_u32_e32 v43, 1, v44
	v_cndmask_b32_e32 v9, 33, v43, vcc_lo
	s_delay_alu instid0(VALU_DEP_1) | instskip(NEXT) | instid1(VALU_DEP_1)
	v_sub_nc_u32_e32 v16, 32, v9
	v_alignbit_b32 v41, v42, v15, v16
	v_alignbit_b32 v8, v15, v8, v16
	v_lshrrev_b32_e32 v15, 29, v0
	s_delay_alu instid0(VALU_DEP_2) | instskip(NEXT) | instid1(VALU_DEP_2)
	v_alignbit_b32 v16, v41, v8, 9
	v_lshlrev_b32_e32 v15, 31, v15
	v_alignbit_b32 v41, v9, v41, 9
	s_delay_alu instid0(VALU_DEP_3) | instskip(NEXT) | instid1(VALU_DEP_2)
	v_clz_i32_u32_e32 v42, v16
	v_or_b32_e32 v41, v41, v15
	v_or_b32_e32 v15, 0x33800000, v15
	s_delay_alu instid0(VALU_DEP_3) | instskip(NEXT) | instid1(VALU_DEP_3)
	v_min_u32_e32 v42, 32, v42
	v_xor_b32_e32 v41, 1.0, v41
	s_delay_alu instid0(VALU_DEP_2) | instskip(SKIP_1) | instid1(VALU_DEP_3)
	v_sub_nc_u32_e32 v43, 31, v42
	v_add_lshl_u32 v9, v42, v9, 23
	v_mul_f32_e32 v42, 0x3fc90fda, v41
	s_delay_alu instid0(VALU_DEP_3) | instskip(NEXT) | instid1(VALU_DEP_3)
	v_alignbit_b32 v8, v16, v8, v43
	v_sub_nc_u32_e32 v9, v15, v9
	s_delay_alu instid0(VALU_DEP_3) | instskip(NEXT) | instid1(VALU_DEP_3)
	v_fma_f32 v15, 0x3fc90fda, v41, -v42
	v_lshrrev_b32_e32 v8, 9, v8
	s_delay_alu instid0(VALU_DEP_2) | instskip(NEXT) | instid1(VALU_DEP_2)
	v_fmac_f32_e32 v15, 0x33a22168, v41
	v_or_b32_e32 v8, v9, v8
	s_delay_alu instid0(VALU_DEP_1) | instskip(SKIP_1) | instid1(VALU_DEP_2)
	v_fmac_f32_e32 v15, 0x3fc90fda, v8
	v_lshrrev_b32_e32 v8, 30, v0
	v_add_f32_e32 v0, v42, v15
	s_delay_alu instid0(VALU_DEP_2)
	v_add_nc_u32_e32 v8, v40, v8
.LBB11_92:                              ;   in Loop: Header=BB11_9 Depth=1
	s_and_not1_saveexec_b32 s0, s3
	s_cbranch_execz .LBB11_7
; %bb.93:                               ;   in Loop: Header=BB11_9 Depth=1
	v_mul_f32_e64 v0, 0x3f22f983, |v6|
	s_delay_alu instid0(VALU_DEP_1) | instskip(NEXT) | instid1(VALU_DEP_1)
	v_rndne_f32_e32 v8, v0
	v_fma_f32 v0, 0xbfc90fda, v8, |v6|
	s_delay_alu instid0(VALU_DEP_1) | instskip(NEXT) | instid1(VALU_DEP_1)
	v_fmac_f32_e32 v0, 0xb3a22168, v8
	v_fmac_f32_e32 v0, 0xa7c234c4, v8
	v_cvt_i32_f32_e32 v8, v8
	s_branch .LBB11_7
.LBB11_94:
	s_endpgm
.LBB11_95:
                                        ; implicit-def: $sgpr2_sgpr3
	s_branch .LBB11_4
	.section	.rodata,"a",@progbits
	.p2align	6, 0x0
	.amdhsa_kernel _ZN2at6native12_GLOBAL__N_143distribution_elementwise_grid_stride_kernelIfLi4EZNS0_9templates4cuda21uniform_and_transformIN3c104HalfEfPNS_17CUDAGeneratorImplEZZZNS4_13cauchy_kernelIS9_EEvRNS_18TensorIteratorBaseEddT_ENKUlvE_clEvENKUlvE1_clEvEUlfE_EEvSC_T1_T2_EUlP25hiprandStatePhilox4_32_10E0_ZNS1_27distribution_nullary_kernelIS7_f15HIP_vector_typeIfLj4EES9_SL_SG_EEvSC_SI_RKT3_T4_EUlifE0_EEvlNS_15PhiloxCudaStateESH_SI_
		.amdhsa_group_segment_fixed_size 0
		.amdhsa_private_segment_fixed_size 0
		.amdhsa_kernarg_size 584
		.amdhsa_user_sgpr_count 15
		.amdhsa_user_sgpr_dispatch_ptr 0
		.amdhsa_user_sgpr_queue_ptr 0
		.amdhsa_user_sgpr_kernarg_segment_ptr 1
		.amdhsa_user_sgpr_dispatch_id 0
		.amdhsa_user_sgpr_private_segment_size 0
		.amdhsa_wavefront_size32 1
		.amdhsa_uses_dynamic_stack 0
		.amdhsa_enable_private_segment 0
		.amdhsa_system_sgpr_workgroup_id_x 1
		.amdhsa_system_sgpr_workgroup_id_y 0
		.amdhsa_system_sgpr_workgroup_id_z 0
		.amdhsa_system_sgpr_workgroup_info 0
		.amdhsa_system_vgpr_workitem_id 0
		.amdhsa_next_free_vgpr 49
		.amdhsa_next_free_sgpr 60
		.amdhsa_reserve_vcc 1
		.amdhsa_float_round_mode_32 0
		.amdhsa_float_round_mode_16_64 0
		.amdhsa_float_denorm_mode_32 3
		.amdhsa_float_denorm_mode_16_64 3
		.amdhsa_dx10_clamp 1
		.amdhsa_ieee_mode 1
		.amdhsa_fp16_overflow 0
		.amdhsa_workgroup_processor_mode 1
		.amdhsa_memory_ordered 1
		.amdhsa_forward_progress 0
		.amdhsa_shared_vgpr_count 0
		.amdhsa_exception_fp_ieee_invalid_op 0
		.amdhsa_exception_fp_denorm_src 0
		.amdhsa_exception_fp_ieee_div_zero 0
		.amdhsa_exception_fp_ieee_overflow 0
		.amdhsa_exception_fp_ieee_underflow 0
		.amdhsa_exception_fp_ieee_inexact 0
		.amdhsa_exception_int_div_zero 0
	.end_amdhsa_kernel
	.section	.text._ZN2at6native12_GLOBAL__N_143distribution_elementwise_grid_stride_kernelIfLi4EZNS0_9templates4cuda21uniform_and_transformIN3c104HalfEfPNS_17CUDAGeneratorImplEZZZNS4_13cauchy_kernelIS9_EEvRNS_18TensorIteratorBaseEddT_ENKUlvE_clEvENKUlvE1_clEvEUlfE_EEvSC_T1_T2_EUlP25hiprandStatePhilox4_32_10E0_ZNS1_27distribution_nullary_kernelIS7_f15HIP_vector_typeIfLj4EES9_SL_SG_EEvSC_SI_RKT3_T4_EUlifE0_EEvlNS_15PhiloxCudaStateESH_SI_,"axG",@progbits,_ZN2at6native12_GLOBAL__N_143distribution_elementwise_grid_stride_kernelIfLi4EZNS0_9templates4cuda21uniform_and_transformIN3c104HalfEfPNS_17CUDAGeneratorImplEZZZNS4_13cauchy_kernelIS9_EEvRNS_18TensorIteratorBaseEddT_ENKUlvE_clEvENKUlvE1_clEvEUlfE_EEvSC_T1_T2_EUlP25hiprandStatePhilox4_32_10E0_ZNS1_27distribution_nullary_kernelIS7_f15HIP_vector_typeIfLj4EES9_SL_SG_EEvSC_SI_RKT3_T4_EUlifE0_EEvlNS_15PhiloxCudaStateESH_SI_,comdat
.Lfunc_end11:
	.size	_ZN2at6native12_GLOBAL__N_143distribution_elementwise_grid_stride_kernelIfLi4EZNS0_9templates4cuda21uniform_and_transformIN3c104HalfEfPNS_17CUDAGeneratorImplEZZZNS4_13cauchy_kernelIS9_EEvRNS_18TensorIteratorBaseEddT_ENKUlvE_clEvENKUlvE1_clEvEUlfE_EEvSC_T1_T2_EUlP25hiprandStatePhilox4_32_10E0_ZNS1_27distribution_nullary_kernelIS7_f15HIP_vector_typeIfLj4EES9_SL_SG_EEvSC_SI_RKT3_T4_EUlifE0_EEvlNS_15PhiloxCudaStateESH_SI_, .Lfunc_end11-_ZN2at6native12_GLOBAL__N_143distribution_elementwise_grid_stride_kernelIfLi4EZNS0_9templates4cuda21uniform_and_transformIN3c104HalfEfPNS_17CUDAGeneratorImplEZZZNS4_13cauchy_kernelIS9_EEvRNS_18TensorIteratorBaseEddT_ENKUlvE_clEvENKUlvE1_clEvEUlfE_EEvSC_T1_T2_EUlP25hiprandStatePhilox4_32_10E0_ZNS1_27distribution_nullary_kernelIS7_f15HIP_vector_typeIfLj4EES9_SL_SG_EEvSC_SI_RKT3_T4_EUlifE0_EEvlNS_15PhiloxCudaStateESH_SI_
                                        ; -- End function
	.section	.AMDGPU.csdata,"",@progbits
; Kernel info:
; codeLenInByte = 9304
; NumSgprs: 62
; NumVgprs: 49
; ScratchSize: 0
; MemoryBound: 0
; FloatMode: 240
; IeeeMode: 1
; LDSByteSize: 0 bytes/workgroup (compile time only)
; SGPRBlocks: 7
; VGPRBlocks: 6
; NumSGPRsForWavesPerEU: 62
; NumVGPRsForWavesPerEU: 49
; Occupancy: 16
; WaveLimiterHint : 1
; COMPUTE_PGM_RSRC2:SCRATCH_EN: 0
; COMPUTE_PGM_RSRC2:USER_SGPR: 15
; COMPUTE_PGM_RSRC2:TRAP_HANDLER: 0
; COMPUTE_PGM_RSRC2:TGID_X_EN: 1
; COMPUTE_PGM_RSRC2:TGID_Y_EN: 0
; COMPUTE_PGM_RSRC2:TGID_Z_EN: 0
; COMPUTE_PGM_RSRC2:TIDIG_COMP_CNT: 0
	.section	.text._ZN2at6native12_GLOBAL__N_143distribution_elementwise_grid_stride_kernelIfLi4EZNS0_9templates4cuda21uniform_and_transformIN3c108BFloat16EfPNS_17CUDAGeneratorImplEZZZNS4_13cauchy_kernelIS9_EEvRNS_18TensorIteratorBaseEddT_ENKUlvE_clEvENKUlvE2_clEvEUlfE_EEvSC_T1_T2_EUlP25hiprandStatePhilox4_32_10E_ZNS1_27distribution_nullary_kernelIS7_f15HIP_vector_typeIdLj2EES9_SL_SG_EEvSC_SI_RKT3_T4_EUlifE_EEvlNS_15PhiloxCudaStateESH_SI_,"axG",@progbits,_ZN2at6native12_GLOBAL__N_143distribution_elementwise_grid_stride_kernelIfLi4EZNS0_9templates4cuda21uniform_and_transformIN3c108BFloat16EfPNS_17CUDAGeneratorImplEZZZNS4_13cauchy_kernelIS9_EEvRNS_18TensorIteratorBaseEddT_ENKUlvE_clEvENKUlvE2_clEvEUlfE_EEvSC_T1_T2_EUlP25hiprandStatePhilox4_32_10E_ZNS1_27distribution_nullary_kernelIS7_f15HIP_vector_typeIdLj2EES9_SL_SG_EEvSC_SI_RKT3_T4_EUlifE_EEvlNS_15PhiloxCudaStateESH_SI_,comdat
	.globl	_ZN2at6native12_GLOBAL__N_143distribution_elementwise_grid_stride_kernelIfLi4EZNS0_9templates4cuda21uniform_and_transformIN3c108BFloat16EfPNS_17CUDAGeneratorImplEZZZNS4_13cauchy_kernelIS9_EEvRNS_18TensorIteratorBaseEddT_ENKUlvE_clEvENKUlvE2_clEvEUlfE_EEvSC_T1_T2_EUlP25hiprandStatePhilox4_32_10E_ZNS1_27distribution_nullary_kernelIS7_f15HIP_vector_typeIdLj2EES9_SL_SG_EEvSC_SI_RKT3_T4_EUlifE_EEvlNS_15PhiloxCudaStateESH_SI_ ; -- Begin function _ZN2at6native12_GLOBAL__N_143distribution_elementwise_grid_stride_kernelIfLi4EZNS0_9templates4cuda21uniform_and_transformIN3c108BFloat16EfPNS_17CUDAGeneratorImplEZZZNS4_13cauchy_kernelIS9_EEvRNS_18TensorIteratorBaseEddT_ENKUlvE_clEvENKUlvE2_clEvEUlfE_EEvSC_T1_T2_EUlP25hiprandStatePhilox4_32_10E_ZNS1_27distribution_nullary_kernelIS7_f15HIP_vector_typeIdLj2EES9_SL_SG_EEvSC_SI_RKT3_T4_EUlifE_EEvlNS_15PhiloxCudaStateESH_SI_
	.p2align	8
	.type	_ZN2at6native12_GLOBAL__N_143distribution_elementwise_grid_stride_kernelIfLi4EZNS0_9templates4cuda21uniform_and_transformIN3c108BFloat16EfPNS_17CUDAGeneratorImplEZZZNS4_13cauchy_kernelIS9_EEvRNS_18TensorIteratorBaseEddT_ENKUlvE_clEvENKUlvE2_clEvEUlfE_EEvSC_T1_T2_EUlP25hiprandStatePhilox4_32_10E_ZNS1_27distribution_nullary_kernelIS7_f15HIP_vector_typeIdLj2EES9_SL_SG_EEvSC_SI_RKT3_T4_EUlifE_EEvlNS_15PhiloxCudaStateESH_SI_,@function
_ZN2at6native12_GLOBAL__N_143distribution_elementwise_grid_stride_kernelIfLi4EZNS0_9templates4cuda21uniform_and_transformIN3c108BFloat16EfPNS_17CUDAGeneratorImplEZZZNS4_13cauchy_kernelIS9_EEvRNS_18TensorIteratorBaseEddT_ENKUlvE_clEvENKUlvE2_clEvEUlfE_EEvSC_T1_T2_EUlP25hiprandStatePhilox4_32_10E_ZNS1_27distribution_nullary_kernelIS7_f15HIP_vector_typeIdLj2EES9_SL_SG_EEvSC_SI_RKT3_T4_EUlifE_EEvlNS_15PhiloxCudaStateESH_SI_: ; @_ZN2at6native12_GLOBAL__N_143distribution_elementwise_grid_stride_kernelIfLi4EZNS0_9templates4cuda21uniform_and_transformIN3c108BFloat16EfPNS_17CUDAGeneratorImplEZZZNS4_13cauchy_kernelIS9_EEvRNS_18TensorIteratorBaseEddT_ENKUlvE_clEvENKUlvE2_clEvEUlfE_EEvSC_T1_T2_EUlP25hiprandStatePhilox4_32_10E_ZNS1_27distribution_nullary_kernelIS7_f15HIP_vector_typeIdLj2EES9_SL_SG_EEvSC_SI_RKT3_T4_EUlifE_EEvlNS_15PhiloxCudaStateESH_SI_
; %bb.0:
	s_clause 0x2
	s_load_b64 s[8:9], s[0:1], 0x10
	s_load_b128 s[4:7], s[0:1], 0x0
	s_load_b32 s2, s[0:1], 0x20
	s_waitcnt lgkmcnt(0)
	v_dual_mov_b32 v2, s8 :: v_dual_mov_b32 v3, s9
	v_dual_mov_b32 v11, s7 :: v_dual_mov_b32 v10, s6
	s_bitcmp0_b32 s2, 0
	s_mov_b32 s2, 0
	s_cbranch_scc1 .LBB12_2
; %bb.1:
	v_dual_mov_b32 v1, s8 :: v_dual_mov_b32 v2, s9
	v_dual_mov_b32 v4, s6 :: v_dual_mov_b32 v5, s7
	s_load_b64 s[6:7], s[0:1], 0x18
	flat_load_b64 v[2:3], v[1:2]
	flat_load_b64 v[10:11], v[4:5]
	s_waitcnt vmcnt(1) lgkmcnt(0)
	v_add_co_u32 v2, vcc_lo, v2, s6
	v_add_co_ci_u32_e32 v3, vcc_lo, s7, v3, vcc_lo
.LBB12_2:
	s_clause 0x1
	s_load_b32 s3, s[0:1], 0x54
	s_load_b32 s18, s[0:1], 0x48
	s_waitcnt lgkmcnt(0)
	s_and_b32 s17, s3, 0xffff
	s_add_u32 s6, s4, -1
	s_mul_i32 s14, s18, s17
	s_addc_u32 s3, s5, -1
	s_lshl_b32 s16, s14, 2
	s_cmp_lg_u64 s[2:3], 0
	s_cbranch_scc0 .LBB12_31
; %bb.3:
	v_cvt_f32_ubyte0_e32 v1, 0
	v_cvt_f32_u32_e32 v4, s16
	s_sub_u32 s8, 0, s16
	s_subb_u32 s9, 0, 0
	s_delay_alu instid0(VALU_DEP_1) | instskip(NEXT) | instid1(VALU_DEP_1)
	v_fmamk_f32 v1, v1, 0x4f800000, v4
	v_rcp_f32_e32 v1, v1
	s_waitcnt_depctr 0xfff
	v_mul_f32_e32 v1, 0x5f7ffffc, v1
	s_delay_alu instid0(VALU_DEP_1) | instskip(NEXT) | instid1(VALU_DEP_1)
	v_mul_f32_e32 v4, 0x2f800000, v1
	v_trunc_f32_e32 v4, v4
	s_delay_alu instid0(VALU_DEP_1) | instskip(SKIP_1) | instid1(VALU_DEP_2)
	v_fmamk_f32 v1, v4, 0xcf800000, v1
	v_cvt_u32_f32_e32 v4, v4
	v_cvt_u32_f32_e32 v1, v1
	s_delay_alu instid0(VALU_DEP_2) | instskip(NEXT) | instid1(VALU_DEP_2)
	v_readfirstlane_b32 s2, v4
	v_readfirstlane_b32 s7, v1
	s_delay_alu instid0(VALU_DEP_2) | instskip(NEXT) | instid1(VALU_DEP_1)
	s_mul_i32 s10, s8, s2
	s_mul_hi_u32 s12, s8, s7
	s_mul_i32 s11, s9, s7
	s_add_i32 s10, s12, s10
	s_mul_i32 s13, s8, s7
	s_add_i32 s10, s10, s11
	s_mul_hi_u32 s12, s7, s13
	s_mul_hi_u32 s19, s2, s13
	s_mul_i32 s11, s2, s13
	s_mul_hi_u32 s13, s7, s10
	s_mul_i32 s7, s7, s10
	s_mul_hi_u32 s20, s2, s10
	s_add_u32 s7, s12, s7
	s_addc_u32 s12, 0, s13
	s_add_u32 s7, s7, s11
	s_mul_i32 s10, s2, s10
	s_addc_u32 s7, s12, s19
	s_addc_u32 s11, s20, 0
	s_add_u32 s7, s7, s10
	s_addc_u32 s10, 0, s11
	v_add_co_u32 v1, s7, v1, s7
	s_delay_alu instid0(VALU_DEP_1) | instskip(SKIP_1) | instid1(VALU_DEP_1)
	s_cmp_lg_u32 s7, 0
	s_addc_u32 s2, s2, s10
	v_readfirstlane_b32 s7, v1
	s_mul_i32 s10, s8, s2
	s_delay_alu instid0(VALU_DEP_1)
	s_mul_hi_u32 s11, s8, s7
	s_mul_i32 s9, s9, s7
	s_add_i32 s10, s11, s10
	s_mul_i32 s8, s8, s7
	s_add_i32 s10, s10, s9
	s_mul_hi_u32 s11, s2, s8
	s_mul_i32 s12, s2, s8
	s_mul_hi_u32 s8, s7, s8
	s_mul_hi_u32 s13, s7, s10
	s_mul_i32 s7, s7, s10
	s_mul_hi_u32 s9, s2, s10
	s_add_u32 s7, s8, s7
	s_addc_u32 s8, 0, s13
	s_add_u32 s7, s7, s12
	s_mul_i32 s10, s2, s10
	s_addc_u32 s7, s8, s11
	s_addc_u32 s8, s9, 0
	s_add_u32 s7, s7, s10
	s_addc_u32 s8, 0, s8
	v_add_co_u32 v1, s7, v1, s7
	s_delay_alu instid0(VALU_DEP_1) | instskip(SKIP_2) | instid1(VALU_DEP_1)
	s_cmp_lg_u32 s7, 0
	s_addc_u32 s7, s2, s8
	s_ashr_i32 s8, s3, 31
	v_readfirstlane_b32 s10, v1
	s_add_u32 s2, s6, s8
	s_mov_b32 s9, s8
	s_addc_u32 s3, s3, s8
	s_delay_alu instid0(SALU_CYCLE_1) | instskip(NEXT) | instid1(SALU_CYCLE_1)
	s_xor_b64 s[2:3], s[2:3], s[8:9]
	s_mul_i32 s12, s2, s7
	s_mul_hi_u32 s13, s2, s10
	s_mul_hi_u32 s11, s2, s7
	;; [unrolled: 1-line block ×3, first 2 shown]
	s_mul_i32 s10, s3, s10
	s_add_u32 s12, s13, s12
	s_addc_u32 s11, 0, s11
	s_mul_hi_u32 s19, s3, s7
	s_add_u32 s10, s12, s10
	s_mul_i32 s7, s3, s7
	s_addc_u32 s10, s11, s20
	s_addc_u32 s11, s19, 0
	s_add_u32 s7, s10, s7
	s_addc_u32 s10, 0, s11
	s_mul_i32 s12, s16, s7
	s_add_u32 s11, s7, 1
	v_sub_co_u32 v1, s2, s2, s12
	s_mul_hi_u32 s12, s16, s7
	s_addc_u32 s13, s10, 0
	s_mul_i32 s19, s16, s10
	s_delay_alu instid0(VALU_DEP_1)
	v_sub_co_u32 v4, s20, v1, s16
	s_add_u32 s21, s7, 2
	s_addc_u32 s22, s10, 0
	s_add_i32 s12, s12, s19
	s_cmp_lg_u32 s2, 0
	v_readfirstlane_b32 s2, v4
	s_subb_u32 s3, s3, s12
	s_cmp_lg_u32 s20, 0
	s_subb_u32 s12, s3, 0
	s_delay_alu instid0(VALU_DEP_1) | instskip(SKIP_4) | instid1(SALU_CYCLE_1)
	s_cmp_ge_u32 s2, s16
	s_cselect_b32 s2, -1, 0
	s_cmp_eq_u32 s12, 0
	v_readfirstlane_b32 s12, v1
	s_cselect_b32 s2, s2, -1
	s_cmp_lg_u32 s2, 0
	s_cselect_b32 s2, s21, s11
	s_cselect_b32 s11, s22, s13
	s_cmp_ge_u32 s12, s16
	s_cselect_b32 s12, -1, 0
	s_cmp_eq_u32 s3, 0
	s_cselect_b32 s3, s12, -1
	s_delay_alu instid0(SALU_CYCLE_1) | instskip(SKIP_2) | instid1(SALU_CYCLE_1)
	s_cmp_lg_u32 s3, 0
	s_cselect_b32 s3, s11, s10
	s_cselect_b32 s2, s2, s7
	s_xor_b64 s[2:3], s[2:3], s[8:9]
	s_delay_alu instid0(SALU_CYCLE_1)
	s_sub_u32 s2, s2, s8
	s_subb_u32 s3, s3, s8
	s_cbranch_execnz .LBB12_5
.LBB12_4:
	v_cvt_f32_u32_e32 v1, s16
	s_sub_i32 s3, 0, s16
	s_delay_alu instid0(VALU_DEP_1) | instskip(SKIP_2) | instid1(VALU_DEP_1)
	v_rcp_iflag_f32_e32 v1, v1
	s_waitcnt_depctr 0xfff
	v_mul_f32_e32 v1, 0x4f7ffffe, v1
	v_cvt_u32_f32_e32 v1, v1
	s_delay_alu instid0(VALU_DEP_1) | instskip(NEXT) | instid1(VALU_DEP_1)
	v_readfirstlane_b32 s2, v1
	s_mul_i32 s3, s3, s2
	s_delay_alu instid0(SALU_CYCLE_1) | instskip(NEXT) | instid1(SALU_CYCLE_1)
	s_mul_hi_u32 s3, s2, s3
	s_add_i32 s2, s2, s3
	s_delay_alu instid0(SALU_CYCLE_1) | instskip(NEXT) | instid1(SALU_CYCLE_1)
	s_mul_hi_u32 s2, s6, s2
	s_mul_i32 s3, s2, s16
	s_delay_alu instid0(SALU_CYCLE_1)
	s_sub_i32 s3, s6, s3
	s_add_i32 s6, s2, 1
	s_sub_i32 s7, s3, s16
	s_cmp_ge_u32 s3, s16
	s_cselect_b32 s2, s6, s2
	s_cselect_b32 s3, s7, s3
	s_add_i32 s6, s2, 1
	s_cmp_ge_u32 s3, s16
	s_mov_b32 s3, 0
	s_cselect_b32 s2, s6, s2
.LBB12_5:
	v_mov_b32_e32 v1, 0
	s_add_u32 s2, s2, 1
	s_addc_u32 s3, s3, 0
	s_mul_hi_u32 s6, s14, s2
	s_mul_i32 s3, s14, s3
	v_mad_u64_u32 v[12:13], null, s17, s15, v[0:1]
	s_mul_hi_u32 s7, s18, s17
	s_add_i32 s3, s6, s3
	s_mul_i32 s7, s7, s2
	s_mul_i32 s2, s14, s2
	s_add_i32 s3, s3, s7
	s_delay_alu instid0(SALU_CYCLE_1)
	s_lshl_b64 s[6:7], s[2:3], 2
	s_mov_b32 s2, exec_lo
	v_cmpx_gt_i64_e64 s[6:7], v[12:13]
	s_cbranch_execz .LBB12_30
; %bb.6:
	v_alignbit_b32 v16, v3, v2, 2
	v_mad_u64_u32 v[6:7], null, 0xcd9e8d57, v12, 0
	v_lshrrev_b32_e32 v17, 2, v3
	s_waitcnt vmcnt(0)
	v_dual_mov_b32 v36, v11 :: v_dual_add_nc_u32 v33, 0x8ff34781, v10
	v_mad_u64_u32 v[4:5], null, 0xd2511f53, v16, 0
	v_add_co_u32 v19, null, 0x9e3779b9, v10
	s_delay_alu instid0(VALU_DEP_3) | instskip(SKIP_1) | instid1(VALU_DEP_4)
	v_add_co_u32 v18, null, 0xbb67ae85, v36
	v_add_co_u32 v20, null, 0x3c6ef372, v10
	v_xor_b32_e32 v3, v5, v11
	v_xor3_b32 v5, v10, v7, v17
	v_add_co_u32 v21, null, 0x76cf5d0a, v36
	v_add_co_u32 v22, null, 0x32370b8f, v36
	s_delay_alu instid0(VALU_DEP_4) | instskip(NEXT) | instid1(VALU_DEP_4)
	v_xor_b32_e32 v3, v3, v13
	v_mad_u64_u32 v[7:8], null, 0xd2511f53, v5, 0
	v_add_co_u32 v23, null, 0xdaa66d2b, v10
	s_delay_alu instid0(VALU_DEP_3) | instskip(SKIP_1) | instid1(VALU_DEP_4)
	v_mad_u64_u32 v[14:15], null, 0xcd9e8d57, v3, 0
	v_add_co_u32 v24, null, 0x78dde6e4, v10
	v_xor3_b32 v5, v18, v8, v4
	v_add_co_u32 v25, null, 0xed9eba14, v36
	v_add_co_u32 v26, null, 0xa9066899, v36
	v_xor3_b32 v8, v19, v15, v6
	s_delay_alu instid0(VALU_DEP_4) | instskip(SKIP_1) | instid1(VALU_DEP_3)
	v_mad_u64_u32 v[3:4], null, 0xcd9e8d57, v5, 0
	v_add_co_u32 v27, null, 0x1715609d, v10
	v_mad_u64_u32 v[5:6], null, 0xd2511f53, v8, 0
	v_add_co_u32 v28, null, 0xb54cda56, v10
	s_delay_alu instid0(VALU_DEP_4) | instskip(SKIP_3) | instid1(VALU_DEP_4)
	v_xor3_b32 v4, v20, v4, v14
	v_add_co_u32 v29, null, 0x646e171e, v36
	v_add_co_u32 v30, null, 0x1fd5c5a3, v36
	v_xor3_b32 v14, v21, v6, v7
	v_mad_u64_u32 v[6:7], null, 0xd2511f53, v4, 0
	v_add_co_u32 v31, null, 0x5384540f, v10
	s_delay_alu instid0(VALU_DEP_3) | instskip(SKIP_1) | instid1(VALU_DEP_4)
	v_mad_u64_u32 v[8:9], null, 0xcd9e8d57, v14, 0
	v_dual_mov_b32 v37, v12 :: v_dual_and_b32 v32, 3, v2
	v_xor3_b32 v5, v22, v7, v5
	s_clause 0x1
	s_load_b128 s[8:11], s[0:1], 0x38
	s_load_b64 s[12:13], s[0:1], 0x30
	v_add_co_u32 v35, null, 0xf1bbcdc8, v10
	s_delay_alu instid0(VALU_DEP_4) | instskip(SKIP_2) | instid1(VALU_DEP_3)
	v_xor3_b32 v7, v23, v9, v3
	v_mad_u64_u32 v[3:4], null, 0xcd9e8d57, v5, 0
	v_add_co_u32 v36, null, 0xdb3d7428, v36
	v_mad_u64_u32 v[14:15], null, 0xd2511f53, v7, 0
	v_add_nc_u32_e32 v34, 0x96a522ad, v11
	s_mov_b32 s3, 0
	s_delay_alu instid0(VALU_DEP_4) | instskip(SKIP_2) | instid1(VALU_DEP_3)
	v_xor3_b32 v7, v24, v4, v8
	s_waitcnt lgkmcnt(0)
	s_mov_b32 s11, 0x7fffff
	v_xor3_b32 v8, v25, v15, v6
	s_delay_alu instid0(VALU_DEP_2) | instskip(SKIP_1) | instid1(VALU_DEP_2)
	v_mad_u64_u32 v[4:5], null, 0xd2511f53, v7, 0
	s_mul_i32 s0, s18, s8
	v_mad_u64_u32 v[6:7], null, 0xcd9e8d57, v8, 0
	s_mul_i32 s0, s0, s17
	s_delay_alu instid0(VALU_DEP_2) | instskip(NEXT) | instid1(VALU_DEP_2)
	v_xor3_b32 v5, v26, v5, v14
	v_xor3_b32 v3, v27, v7, v3
	s_delay_alu instid0(VALU_DEP_2) | instskip(NEXT) | instid1(VALU_DEP_2)
	v_mad_u64_u32 v[7:8], null, 0xcd9e8d57, v5, 0
	v_mad_u64_u32 v[14:15], null, 0xd2511f53, v3, 0
	s_delay_alu instid0(VALU_DEP_2) | instskip(NEXT) | instid1(VALU_DEP_2)
	v_xor3_b32 v5, v28, v8, v6
	v_xor3_b32 v8, v29, v15, v4
	s_delay_alu instid0(VALU_DEP_2) | instskip(NEXT) | instid1(VALU_DEP_2)
	v_mad_u64_u32 v[3:4], null, 0xd2511f53, v5, 0
	v_mad_u64_u32 v[5:6], null, 0xcd9e8d57, v8, 0
	;; [unrolled: 1-line block ×3, first 2 shown]
	s_delay_alu instid0(VALU_DEP_3) | instskip(SKIP_2) | instid1(VALU_DEP_3)
	v_xor3_b32 v2, v30, v4, v14
	s_add_i32 s15, s15, s18
	s_mov_b32 s18, 0
	v_xor3_b32 v4, v31, v6, v7
	s_delay_alu instid0(VALU_DEP_2) | instskip(NEXT) | instid1(VALU_DEP_4)
	v_mad_u64_u32 v[14:15], null, 0xcd9e8d57, v2, 0
	v_mul_lo_u32 v38, s8, v8
	s_delay_alu instid0(VALU_DEP_3) | instskip(NEXT) | instid1(VALU_DEP_3)
	v_mad_u64_u32 v[40:41], null, 0xd2511f53, v4, 0
	v_xor3_b32 v5, v35, v15, v5
	s_delay_alu instid0(VALU_DEP_2) | instskip(SKIP_1) | instid1(VALU_DEP_3)
	v_xor3_b32 v9, v36, v41, v3
	v_mad_u64_u32 v[2:3], null, s15, s17, v[0:1]
	v_mad_u64_u32 v[3:4], null, 0xd2511f53, v5, 0
	s_delay_alu instid0(VALU_DEP_3) | instskip(SKIP_2) | instid1(VALU_DEP_3)
	v_mad_u64_u32 v[6:7], null, 0xcd9e8d57, v9, 0
	s_mov_b32 s15, 0xbc8cedd3
	s_mov_b32 s17, 0x3c971480
	v_mul_lo_u32 v39, s8, v2
	s_lshl_b32 s8, s0, 2
	s_delay_alu instid0(VALU_DEP_3) | instskip(NEXT) | instid1(VALU_DEP_3)
	v_mov_b32_e32 v8, v3
	v_xor3_b32 v5, v7, v14, v33
	v_xor3_b32 v7, v4, v40, v34
	v_mov_b32_e32 v40, v13
	s_branch .LBB12_9
.LBB12_7:                               ;   in Loop: Header=BB12_9 Depth=1
	s_or_b32 exec_lo, exec_lo, s0
	s_delay_alu instid0(VALU_DEP_1) | instskip(NEXT) | instid1(VALU_DEP_1)
	v_dual_mul_f32 v8, v0, v0 :: v_dual_and_b32 v7, 1, v7
	v_fmaak_f32 v9, s17, v8, 0xbf039337
	v_fmaak_f32 v15, s15, v8, 0x3ec54587
	s_delay_alu instid0(VALU_DEP_3) | instskip(NEXT) | instid1(VALU_DEP_3)
	v_cmp_eq_u32_e32 vcc_lo, 0, v7
	v_fmaak_f32 v9, v8, v9, 0x3f93f425
	s_delay_alu instid0(VALU_DEP_1) | instskip(SKIP_2) | instid1(VALU_DEP_1)
	v_rcp_f32_e32 v9, v9
	s_waitcnt_depctr 0xfff
	v_mul_f32_e32 v9, v15, v9
	v_mul_f32_e32 v8, v8, v9
	s_delay_alu instid0(VALU_DEP_1) | instskip(NEXT) | instid1(VALU_DEP_1)
	v_fma_f32 v9, v8, v0, v0
	v_rcp_f32_e32 v15, v9
	v_sub_f32_e32 v41, v9, v0
	s_delay_alu instid0(VALU_DEP_1) | instskip(SKIP_2) | instid1(VALU_DEP_1)
	v_fma_f32 v0, v8, v0, -v41
	s_waitcnt_depctr 0xfff
	v_fma_f32 v8, v9, -v15, 1.0
	v_fma_f32 v0, v0, -v15, v8
	s_delay_alu instid0(VALU_DEP_1) | instskip(NEXT) | instid1(VALU_DEP_1)
	v_fma_f32 v0, v0, -v15, -v15
	v_cndmask_b32_e32 v0, v0, v9, vcc_lo
	v_cmp_class_f32_e64 vcc_lo, v5, 0x1f8
	s_delay_alu instid0(VALU_DEP_2) | instskip(SKIP_1) | instid1(VALU_DEP_2)
	v_xor3_b32 v0, v6, v5, v0
	v_add_nc_u32_e32 v6, s18, v39
	v_cndmask_b32_e32 v0, 0x7fc00000, v0, vcc_lo
	s_delay_alu instid0(VALU_DEP_2) | instskip(NEXT) | instid1(VALU_DEP_2)
	v_ashrrev_i32_e32 v7, 31, v6
	v_fma_f32 v0, s10, v0, s9
	s_delay_alu instid0(VALU_DEP_1) | instskip(NEXT) | instid1(VALU_DEP_1)
	v_bfe_u32 v5, v0, 16, 1
	v_add3_u32 v5, v0, v5, 0x7fff
	s_delay_alu instid0(VALU_DEP_1) | instskip(SKIP_3) | instid1(VALU_DEP_4)
	v_lshrrev_b32_e32 v8, 16, v5
	v_add_co_u32 v5, vcc_lo, s12, v6
	v_add_co_ci_u32_e32 v6, vcc_lo, s13, v7, vcc_lo
	v_cmp_o_f32_e32 vcc_lo, v0, v0
	v_cndmask_b32_e32 v0, 0x7fc0, v8, vcc_lo
	global_store_b16 v[5:6], v0, off
.LBB12_8:                               ;   in Loop: Header=BB12_9 Depth=1
	s_or_b32 exec_lo, exec_lo, s19
	v_add_co_u32 v12, vcc_lo, v12, s16
	v_add_co_ci_u32_e32 v13, vcc_lo, 0, v13, vcc_lo
	v_mov_b32_e32 v5, v14
	s_add_i32 s18, s18, s8
	s_waitcnt_vscnt null, 0x0
	s_delay_alu instid0(VALU_DEP_2)
	v_cmp_le_i64_e32 vcc_lo, s[6:7], v[12:13]
	s_barrier
	v_mov_b32_e32 v8, v5
	v_dual_mov_b32 v7, v4 :: v_dual_mov_b32 v6, v3
	v_mov_b32_e32 v5, v2
	s_or_b32 s3, vcc_lo, s3
	buffer_gl0_inv
	s_and_not1_b32 exec_lo, exec_lo, s3
	s_cbranch_execz .LBB12_30
.LBB12_9:                               ; =>This Inner Loop Header: Depth=1
	v_add_co_u32 v16, vcc_lo, v16, 1
	s_delay_alu instid0(VALU_DEP_1) | instskip(SKIP_1) | instid1(VALU_DEP_3)
	v_cndmask_b32_e64 v0, 0, 1, vcc_lo
	v_add_co_ci_u32_e32 v17, vcc_lo, 0, v17, vcc_lo
	v_mad_u64_u32 v[2:3], null, 0xd2511f53, v16, 0
	s_mov_b32 s0, exec_lo
	s_delay_alu instid0(VALU_DEP_2) | instskip(SKIP_1) | instid1(VALU_DEP_1)
	v_cmp_eq_u32_e32 vcc_lo, 0, v17
	v_cndmask_b32_e32 v0, 0, v0, vcc_lo
	v_add_nc_u32_e32 v37, v0, v37
	s_delay_alu instid0(VALU_DEP_1) | instskip(SKIP_2) | instid1(VALU_DEP_2)
	v_cmp_eq_u32_e32 vcc_lo, 0, v37
	v_cndmask_b32_e32 v0, 0, v0, vcc_lo
	v_mad_u64_u32 v[14:15], null, 0xcd9e8d57, v37, 0
	v_add_nc_u32_e32 v40, v0, v40
	v_xor_b32_e32 v0, v3, v11
	s_delay_alu instid0(VALU_DEP_3) | instskip(NEXT) | instid1(VALU_DEP_2)
	v_xor3_b32 v9, v15, v10, v17
	v_xor_b32_e32 v0, v40, v0
	s_delay_alu instid0(VALU_DEP_2) | instskip(NEXT) | instid1(VALU_DEP_2)
	v_mad_u64_u32 v[3:4], null, 0xd2511f53, v9, 0
	v_mad_u64_u32 v[41:42], null, 0xcd9e8d57, v0, 0
	s_delay_alu instid0(VALU_DEP_2) | instskip(NEXT) | instid1(VALU_DEP_2)
	v_xor3_b32 v0, v18, v4, v2
	v_xor3_b32 v2, v19, v42, v14
	s_delay_alu instid0(VALU_DEP_2) | instskip(NEXT) | instid1(VALU_DEP_2)
	v_mad_u64_u32 v[14:15], null, 0xcd9e8d57, v0, 0
	v_mad_u64_u32 v[42:43], null, 0xd2511f53, v2, 0
	s_delay_alu instid0(VALU_DEP_2) | instskip(NEXT) | instid1(VALU_DEP_2)
	v_xor3_b32 v0, v20, v15, v41
	v_xor3_b32 v4, v21, v43, v3
	;; [unrolled: 6-line block ×9, first 2 shown]
	s_delay_alu instid0(VALU_DEP_2)
	v_mov_b32_e32 v4, v9
	v_cmpx_lt_i32_e32 1, v32
	s_xor_b32 s0, exec_lo, s0
	s_cbranch_execnz .LBB12_12
; %bb.10:                               ;   in Loop: Header=BB12_9 Depth=1
	s_and_not1_saveexec_b32 s0, s0
	s_cbranch_execnz .LBB12_17
.LBB12_11:                              ;   in Loop: Header=BB12_9 Depth=1
	s_or_b32 exec_lo, exec_lo, s0
	s_delay_alu instid0(SALU_CYCLE_1)
	s_mov_b32 s19, exec_lo
	v_cmpx_gt_i64_e64 s[4:5], v[12:13]
	s_cbranch_execnz .LBB12_20
	s_branch .LBB12_25
.LBB12_12:                              ;   in Loop: Header=BB12_9 Depth=1
	s_mov_b32 s1, exec_lo
	v_cmpx_lt_i32_e32 2, v32
	s_xor_b32 s1, exec_lo, s1
; %bb.13:                               ;   in Loop: Header=BB12_9 Depth=1
	v_dual_mov_b32 v6, v8 :: v_dual_mov_b32 v7, v2
	v_mov_b32_e32 v8, v3
	s_delay_alu instid0(VALU_DEP_2) | instskip(NEXT) | instid1(VALU_DEP_3)
	v_mov_b32_e32 v5, v6
	v_mov_b32_e32 v6, v7
	s_delay_alu instid0(VALU_DEP_3)
	v_mov_b32_e32 v7, v8
	v_mov_b32_e32 v8, v9
; %bb.14:                               ;   in Loop: Header=BB12_9 Depth=1
	s_and_not1_saveexec_b32 s1, s1
; %bb.15:                               ;   in Loop: Header=BB12_9 Depth=1
	s_delay_alu instid0(VALU_DEP_1)
	v_dual_mov_b32 v5, v7 :: v_dual_mov_b32 v6, v8
	v_dual_mov_b32 v7, v2 :: v_dual_mov_b32 v8, v3
; %bb.16:                               ;   in Loop: Header=BB12_9 Depth=1
	s_or_b32 exec_lo, exec_lo, s1
	s_and_not1_saveexec_b32 s0, s0
	s_cbranch_execz .LBB12_11
.LBB12_17:                              ;   in Loop: Header=BB12_9 Depth=1
	s_mov_b32 s1, exec_lo
	v_cmpx_eq_u32_e32 1, v32
; %bb.18:                               ;   in Loop: Header=BB12_9 Depth=1
	v_dual_mov_b32 v5, v6 :: v_dual_mov_b32 v6, v7
	v_dual_mov_b32 v7, v8 :: v_dual_mov_b32 v8, v2
; %bb.19:                               ;   in Loop: Header=BB12_9 Depth=1
	s_or_b32 exec_lo, exec_lo, s1
	s_delay_alu instid0(SALU_CYCLE_1) | instskip(NEXT) | instid1(SALU_CYCLE_1)
	s_or_b32 exec_lo, exec_lo, s0
	s_mov_b32 s19, exec_lo
	v_cmpx_gt_i64_e64 s[4:5], v[12:13]
	s_cbranch_execz .LBB12_25
.LBB12_20:                              ;   in Loop: Header=BB12_9 Depth=1
	v_lshrrev_b32_e32 v0, 11, v6
	v_cvt_f64_u32_e32 v[5:6], v5
                                        ; implicit-def: $vgpr9
	s_mov_b32 s1, exec_lo
	s_delay_alu instid0(VALU_DEP_2) | instskip(NEXT) | instid1(VALU_DEP_1)
	v_cvt_f64_u32_e32 v[41:42], v0
	v_ldexp_f64 v[41:42], v[41:42], 32
	s_delay_alu instid0(VALU_DEP_1) | instskip(NEXT) | instid1(VALU_DEP_1)
	v_add_f64 v[5:6], v[41:42], v[5:6]
	v_fma_f64 v[5:6], 0x3ca00000, v[5:6], 0x3ca00000
	s_delay_alu instid0(VALU_DEP_1) | instskip(NEXT) | instid1(VALU_DEP_1)
	v_cvt_f32_f64_e32 v0, v[5:6]
	v_cmp_nlt_f32_e32 vcc_lo, 0x3f7ffffe, v0
	v_cndmask_b32_e32 v0, 0x3f7ffffe, v0, vcc_lo
	s_delay_alu instid0(VALU_DEP_1) | instskip(SKIP_1) | instid1(VALU_DEP_1)
	v_cmp_ngt_f32_e32 vcc_lo, 0x34000000, v0
	v_cndmask_b32_e32 v0, 0x34000000, v0, vcc_lo
	v_add_f32_e32 v0, -0.5, v0
	s_delay_alu instid0(VALU_DEP_1) | instskip(NEXT) | instid1(VALU_DEP_1)
	v_mul_f32_e32 v5, 0x40490fdb, v0
                                        ; implicit-def: $vgpr0
	v_and_b32_e32 v6, 0x7fffffff, v5
	v_cmpx_ngt_f32_e64 0x48000000, |v5|
	s_xor_b32 s20, exec_lo, s1
	s_cbranch_execz .LBB12_22
; %bb.21:                               ;   in Loop: Header=BB12_9 Depth=1
	s_delay_alu instid0(VALU_DEP_2) | instskip(SKIP_1) | instid1(VALU_DEP_2)
	v_and_or_b32 v9, v6, s11, 0x800000
	v_lshrrev_b32_e32 v15, 23, v6
	v_mad_u64_u32 v[41:42], null, 0xfe5163ab, v9, 0
	s_delay_alu instid0(VALU_DEP_2) | instskip(NEXT) | instid1(VALU_DEP_1)
	v_add_nc_u32_e32 v15, 0xffffff88, v15
	v_cmp_lt_u32_e32 vcc_lo, 63, v15
	s_delay_alu instid0(VALU_DEP_3) | instskip(SKIP_1) | instid1(VALU_DEP_2)
	v_mov_b32_e32 v0, v42
	v_cndmask_b32_e64 v47, 0, 0xffffffc0, vcc_lo
	v_mad_u64_u32 v[42:43], null, 0x3c439041, v9, v[0:1]
	s_delay_alu instid0(VALU_DEP_2) | instskip(NEXT) | instid1(VALU_DEP_1)
	v_add_nc_u32_e32 v15, v47, v15
	v_cmp_lt_u32_e64 s0, 31, v15
	s_delay_alu instid0(VALU_DEP_1) | instskip(NEXT) | instid1(VALU_DEP_1)
	v_cndmask_b32_e64 v48, 0, 0xffffffe0, s0
	v_dual_mov_b32 v0, v43 :: v_dual_add_nc_u32 v15, v48, v15
	s_delay_alu instid0(VALU_DEP_1) | instskip(NEXT) | instid1(VALU_DEP_2)
	v_mad_u64_u32 v[43:44], null, 0xdb629599, v9, v[0:1]
	v_cmp_lt_u32_e64 s1, 31, v15
	s_delay_alu instid0(VALU_DEP_2) | instskip(NEXT) | instid1(VALU_DEP_1)
	v_dual_mov_b32 v0, v44 :: v_dual_cndmask_b32 v41, v43, v41
	v_mad_u64_u32 v[44:45], null, 0xf534ddc0, v9, v[0:1]
	s_delay_alu instid0(VALU_DEP_1) | instskip(NEXT) | instid1(VALU_DEP_1)
	v_mov_b32_e32 v0, v45
	v_mad_u64_u32 v[45:46], null, 0xfc2757d1, v9, v[0:1]
	s_delay_alu instid0(VALU_DEP_1) | instskip(NEXT) | instid1(VALU_DEP_1)
	v_mov_b32_e32 v0, v46
	;; [unrolled: 3-line block ×3, first 2 shown]
	v_mad_u64_u32 v[47:48], null, 0xa2f9836e, v9, v[0:1]
	v_cndmask_b32_e64 v0, 0, 0xffffffe0, s1
	s_delay_alu instid0(VALU_DEP_1) | instskip(SKIP_1) | instid1(VALU_DEP_4)
	v_dual_cndmask_b32 v9, v46, v44 :: v_dual_add_nc_u32 v0, v0, v15
	v_cndmask_b32_e32 v15, v44, v42, vcc_lo
	v_dual_cndmask_b32 v47, v47, v45 :: v_dual_cndmask_b32 v46, v48, v46
	v_cndmask_b32_e32 v45, v45, v43, vcc_lo
	s_delay_alu instid0(VALU_DEP_4) | instskip(NEXT) | instid1(VALU_DEP_3)
	v_cmp_eq_u32_e64 s2, 0, v0
	v_cndmask_b32_e64 v42, v47, v9, s0
	s_delay_alu instid0(VALU_DEP_4) | instskip(NEXT) | instid1(VALU_DEP_4)
	v_cndmask_b32_e64 v44, v46, v47, s0
	v_cndmask_b32_e64 v9, v9, v45, s0
	v_sub_nc_u32_e32 v46, 32, v0
	v_cndmask_b32_e64 v45, v45, v15, s0
	v_cndmask_b32_e64 v15, v15, v41, s0
	;; [unrolled: 1-line block ×4, first 2 shown]
	s_delay_alu instid0(VALU_DEP_4) | instskip(NEXT) | instid1(VALU_DEP_4)
	v_cndmask_b32_e64 v9, v9, v45, s1
	v_cndmask_b32_e64 v15, v45, v15, s1
	s_delay_alu instid0(VALU_DEP_3) | instskip(NEXT) | instid1(VALU_DEP_3)
	v_alignbit_b32 v47, v44, v42, v46
	v_alignbit_b32 v48, v42, v9, v46
	s_delay_alu instid0(VALU_DEP_3) | instskip(NEXT) | instid1(VALU_DEP_3)
	v_alignbit_b32 v46, v9, v15, v46
	v_cndmask_b32_e64 v0, v47, v44, s2
	s_delay_alu instid0(VALU_DEP_3) | instskip(NEXT) | instid1(VALU_DEP_3)
	v_cndmask_b32_e64 v42, v48, v42, s2
	v_cndmask_b32_e64 v9, v46, v9, s2
	s_delay_alu instid0(VALU_DEP_3) | instskip(NEXT) | instid1(VALU_DEP_3)
	v_bfe_u32 v43, v0, 29, 1
	v_alignbit_b32 v41, v0, v42, 30
	s_delay_alu instid0(VALU_DEP_3) | instskip(SKIP_1) | instid1(VALU_DEP_4)
	v_alignbit_b32 v42, v42, v9, 30
	v_alignbit_b32 v9, v9, v15, 30
	v_sub_nc_u32_e32 v44, 0, v43
	s_delay_alu instid0(VALU_DEP_1) | instskip(SKIP_3) | instid1(VALU_DEP_4)
	v_xor_b32_e32 v45, v41, v44
	v_cmp_ne_u32_e32 vcc_lo, v41, v44
	v_xor_b32_e32 v15, v42, v44
	v_xor_b32_e32 v9, v9, v44
	v_clz_i32_u32_e32 v47, v45
	s_delay_alu instid0(VALU_DEP_1) | instskip(NEXT) | instid1(VALU_DEP_1)
	v_add_nc_u32_e32 v46, 1, v47
	v_cndmask_b32_e32 v41, 33, v46, vcc_lo
	s_delay_alu instid0(VALU_DEP_1) | instskip(NEXT) | instid1(VALU_DEP_1)
	v_sub_nc_u32_e32 v42, 32, v41
	v_alignbit_b32 v44, v45, v15, v42
	v_alignbit_b32 v9, v15, v9, v42
	v_lshrrev_b32_e32 v15, 29, v0
	s_delay_alu instid0(VALU_DEP_2) | instskip(NEXT) | instid1(VALU_DEP_2)
	v_alignbit_b32 v42, v44, v9, 9
	v_lshlrev_b32_e32 v15, 31, v15
	v_alignbit_b32 v44, v41, v44, 9
	s_delay_alu instid0(VALU_DEP_3) | instskip(NEXT) | instid1(VALU_DEP_2)
	v_clz_i32_u32_e32 v45, v42
	v_or_b32_e32 v44, v44, v15
	v_or_b32_e32 v15, 0x33800000, v15
	s_delay_alu instid0(VALU_DEP_3) | instskip(NEXT) | instid1(VALU_DEP_3)
	v_min_u32_e32 v45, 32, v45
	v_xor_b32_e32 v44, 1.0, v44
	s_delay_alu instid0(VALU_DEP_2) | instskip(SKIP_1) | instid1(VALU_DEP_3)
	v_sub_nc_u32_e32 v46, 31, v45
	v_add_lshl_u32 v41, v45, v41, 23
	v_mul_f32_e32 v45, 0x3fc90fda, v44
	s_delay_alu instid0(VALU_DEP_3) | instskip(NEXT) | instid1(VALU_DEP_3)
	v_alignbit_b32 v9, v42, v9, v46
	v_sub_nc_u32_e32 v15, v15, v41
	s_delay_alu instid0(VALU_DEP_3) | instskip(NEXT) | instid1(VALU_DEP_3)
	v_fma_f32 v41, 0x3fc90fda, v44, -v45
	v_lshrrev_b32_e32 v9, 9, v9
	s_delay_alu instid0(VALU_DEP_2) | instskip(NEXT) | instid1(VALU_DEP_2)
	v_fmac_f32_e32 v41, 0x33a22168, v44
	v_or_b32_e32 v9, v15, v9
	s_delay_alu instid0(VALU_DEP_1) | instskip(SKIP_1) | instid1(VALU_DEP_2)
	v_fmac_f32_e32 v41, 0x3fc90fda, v9
	v_lshrrev_b32_e32 v9, 30, v0
	v_add_f32_e32 v0, v45, v41
	s_delay_alu instid0(VALU_DEP_2)
	v_add_nc_u32_e32 v9, v43, v9
.LBB12_22:                              ;   in Loop: Header=BB12_9 Depth=1
	s_and_not1_saveexec_b32 s0, s20
; %bb.23:                               ;   in Loop: Header=BB12_9 Depth=1
	v_mul_f32_e64 v0, 0x3f22f983, |v5|
	s_delay_alu instid0(VALU_DEP_1) | instskip(NEXT) | instid1(VALU_DEP_1)
	v_rndne_f32_e32 v9, v0
	v_fma_f32 v0, 0xbfc90fda, v9, |v5|
	s_delay_alu instid0(VALU_DEP_1) | instskip(NEXT) | instid1(VALU_DEP_1)
	v_fmac_f32_e32 v0, 0xb3a22168, v9
	v_fmac_f32_e32 v0, 0xa7c234c4, v9
	v_cvt_i32_f32_e32 v9, v9
; %bb.24:                               ;   in Loop: Header=BB12_9 Depth=1
	s_or_b32 exec_lo, exec_lo, s0
	s_delay_alu instid0(VALU_DEP_2) | instskip(NEXT) | instid1(VALU_DEP_2)
	v_mul_f32_e32 v15, v0, v0
	v_and_b32_e32 v9, 1, v9
	s_delay_alu instid0(VALU_DEP_2) | instskip(SKIP_1) | instid1(VALU_DEP_3)
	v_fmaak_f32 v41, s17, v15, 0xbf039337
	v_fmaak_f32 v42, s15, v15, 0x3ec54587
	v_cmp_eq_u32_e32 vcc_lo, 0, v9
	s_delay_alu instid0(VALU_DEP_3) | instskip(NEXT) | instid1(VALU_DEP_1)
	v_fmaak_f32 v41, v15, v41, 0x3f93f425
	v_rcp_f32_e32 v41, v41
	s_waitcnt_depctr 0xfff
	v_mul_f32_e32 v41, v42, v41
	s_delay_alu instid0(VALU_DEP_1) | instskip(NEXT) | instid1(VALU_DEP_1)
	v_mul_f32_e32 v15, v15, v41
	v_fma_f32 v41, v15, v0, v0
	s_delay_alu instid0(VALU_DEP_1) | instskip(SKIP_1) | instid1(VALU_DEP_1)
	v_rcp_f32_e32 v42, v41
	v_sub_f32_e32 v43, v41, v0
	v_fma_f32 v0, v15, v0, -v43
	s_waitcnt_depctr 0xfff
	v_fma_f32 v15, v41, -v42, 1.0
	s_delay_alu instid0(VALU_DEP_1) | instskip(NEXT) | instid1(VALU_DEP_1)
	v_fma_f32 v0, v0, -v42, v15
	v_fma_f32 v0, v0, -v42, -v42
	s_delay_alu instid0(VALU_DEP_1) | instskip(SKIP_1) | instid1(VALU_DEP_2)
	v_cndmask_b32_e32 v0, v0, v41, vcc_lo
	v_cmp_class_f32_e64 vcc_lo, v5, 0x1f8
	v_xor3_b32 v0, v6, v5, v0
	v_add_nc_u32_e32 v6, s18, v38
	s_delay_alu instid0(VALU_DEP_2) | instskip(NEXT) | instid1(VALU_DEP_2)
	v_cndmask_b32_e32 v0, 0x7fc00000, v0, vcc_lo
	v_ashrrev_i32_e32 v9, 31, v6
	s_delay_alu instid0(VALU_DEP_2) | instskip(NEXT) | instid1(VALU_DEP_1)
	v_fma_f32 v0, s10, v0, s9
	v_bfe_u32 v5, v0, 16, 1
	s_delay_alu instid0(VALU_DEP_1) | instskip(NEXT) | instid1(VALU_DEP_1)
	v_add3_u32 v5, v0, v5, 0x7fff
	v_lshrrev_b32_e32 v15, 16, v5
	v_add_co_u32 v5, vcc_lo, s12, v6
	v_add_co_ci_u32_e32 v6, vcc_lo, s13, v9, vcc_lo
	v_cmp_o_f32_e32 vcc_lo, v0, v0
	s_delay_alu instid0(VALU_DEP_4)
	v_cndmask_b32_e32 v0, 0x7fc0, v15, vcc_lo
	global_store_b16 v[5:6], v0, off
.LBB12_25:                              ;   in Loop: Header=BB12_9 Depth=1
	s_or_b32 exec_lo, exec_lo, s19
	v_add_co_u32 v5, vcc_lo, s14, v12
	v_add_co_ci_u32_e32 v6, vcc_lo, 0, v13, vcc_lo
	s_mov_b32 s19, exec_lo
	s_delay_alu instid0(VALU_DEP_1)
	v_cmpx_gt_i64_e64 s[4:5], v[5:6]
	s_cbranch_execz .LBB12_8
; %bb.26:                               ;   in Loop: Header=BB12_9 Depth=1
	v_lshrrev_b32_e32 v0, 11, v8
	v_cvt_f64_u32_e32 v[7:8], v7
	s_mov_b32 s1, exec_lo
	s_delay_alu instid0(VALU_DEP_2) | instskip(NEXT) | instid1(VALU_DEP_1)
	v_cvt_f64_u32_e32 v[5:6], v0
	v_ldexp_f64 v[5:6], v[5:6], 32
	s_delay_alu instid0(VALU_DEP_1) | instskip(NEXT) | instid1(VALU_DEP_1)
	v_add_f64 v[5:6], v[5:6], v[7:8]
                                        ; implicit-def: $vgpr7
	v_fma_f64 v[5:6], 0x3ca00000, v[5:6], 0x3ca00000
	s_delay_alu instid0(VALU_DEP_1) | instskip(NEXT) | instid1(VALU_DEP_1)
	v_cvt_f32_f64_e32 v0, v[5:6]
	v_cmp_nlt_f32_e32 vcc_lo, 0x3f7ffffe, v0
	v_cndmask_b32_e32 v0, 0x3f7ffffe, v0, vcc_lo
	s_delay_alu instid0(VALU_DEP_1) | instskip(SKIP_1) | instid1(VALU_DEP_1)
	v_cmp_ngt_f32_e32 vcc_lo, 0x34000000, v0
	v_cndmask_b32_e32 v0, 0x34000000, v0, vcc_lo
	v_add_f32_e32 v0, -0.5, v0
	s_delay_alu instid0(VALU_DEP_1) | instskip(NEXT) | instid1(VALU_DEP_1)
	v_mul_f32_e32 v5, 0x40490fdb, v0
                                        ; implicit-def: $vgpr0
	v_and_b32_e32 v6, 0x7fffffff, v5
	v_cmpx_ngt_f32_e64 0x48000000, |v5|
	s_xor_b32 s20, exec_lo, s1
	s_cbranch_execz .LBB12_28
; %bb.27:                               ;   in Loop: Header=BB12_9 Depth=1
	s_delay_alu instid0(VALU_DEP_2) | instskip(NEXT) | instid1(VALU_DEP_1)
	v_and_or_b32 v15, v6, s11, 0x800000
	v_mad_u64_u32 v[7:8], null, 0xfe5163ab, v15, 0
	s_delay_alu instid0(VALU_DEP_1) | instskip(NEXT) | instid1(VALU_DEP_1)
	v_mov_b32_e32 v0, v8
	v_mad_u64_u32 v[8:9], null, 0x3c439041, v15, v[0:1]
	s_delay_alu instid0(VALU_DEP_1) | instskip(SKIP_1) | instid1(VALU_DEP_1)
	v_mov_b32_e32 v0, v9
	v_lshrrev_b32_e32 v9, 23, v6
	v_add_nc_u32_e32 v9, 0xffffff88, v9
	s_delay_alu instid0(VALU_DEP_1) | instskip(SKIP_1) | instid1(VALU_DEP_1)
	v_cmp_lt_u32_e32 vcc_lo, 63, v9
	v_cndmask_b32_e64 v45, 0, 0xffffffc0, vcc_lo
	v_add_nc_u32_e32 v9, v45, v9
	s_delay_alu instid0(VALU_DEP_1) | instskip(NEXT) | instid1(VALU_DEP_1)
	v_cmp_lt_u32_e64 s0, 31, v9
	v_cndmask_b32_e64 v46, 0, 0xffffffe0, s0
	s_delay_alu instid0(VALU_DEP_1) | instskip(SKIP_1) | instid1(VALU_DEP_2)
	v_add_nc_u32_e32 v9, v46, v9
	v_mad_u64_u32 v[41:42], null, 0xdb629599, v15, v[0:1]
	v_cmp_lt_u32_e64 s1, 31, v9
	s_delay_alu instid0(VALU_DEP_2) | instskip(NEXT) | instid1(VALU_DEP_1)
	v_dual_mov_b32 v0, v42 :: v_dual_cndmask_b32 v7, v41, v7
	v_mad_u64_u32 v[42:43], null, 0xf534ddc0, v15, v[0:1]
	s_delay_alu instid0(VALU_DEP_1) | instskip(NEXT) | instid1(VALU_DEP_2)
	v_mov_b32_e32 v0, v43
	v_cndmask_b32_e32 v8, v42, v8, vcc_lo
	s_delay_alu instid0(VALU_DEP_2) | instskip(NEXT) | instid1(VALU_DEP_2)
	v_mad_u64_u32 v[43:44], null, 0xfc2757d1, v15, v[0:1]
	v_cndmask_b32_e64 v7, v8, v7, s0
	s_delay_alu instid0(VALU_DEP_2) | instskip(NEXT) | instid1(VALU_DEP_1)
	v_mov_b32_e32 v0, v44
	v_mad_u64_u32 v[44:45], null, 0x4e441529, v15, v[0:1]
	s_delay_alu instid0(VALU_DEP_1) | instskip(NEXT) | instid1(VALU_DEP_1)
	v_mov_b32_e32 v0, v45
	v_mad_u64_u32 v[45:46], null, 0xa2f9836e, v15, v[0:1]
	v_cndmask_b32_e64 v0, 0, 0xffffffe0, s1
	s_delay_alu instid0(VALU_DEP_4) | instskip(NEXT) | instid1(VALU_DEP_2)
	v_cndmask_b32_e32 v15, v44, v42, vcc_lo
	v_dual_cndmask_b32 v45, v45, v43 :: v_dual_add_nc_u32 v0, v0, v9
	s_delay_alu instid0(VALU_DEP_4) | instskip(NEXT) | instid1(VALU_DEP_2)
	v_dual_cndmask_b32 v44, v46, v44 :: v_dual_cndmask_b32 v43, v43, v41
	v_cmp_eq_u32_e64 s2, 0, v0
	s_delay_alu instid0(VALU_DEP_3) | instskip(NEXT) | instid1(VALU_DEP_3)
	v_cndmask_b32_e64 v9, v45, v15, s0
	v_cndmask_b32_e64 v42, v44, v45, s0
	s_delay_alu instid0(VALU_DEP_4) | instskip(SKIP_2) | instid1(VALU_DEP_4)
	v_cndmask_b32_e64 v15, v15, v43, s0
	v_sub_nc_u32_e32 v44, 32, v0
	v_cndmask_b32_e64 v43, v43, v8, s0
	v_cndmask_b32_e64 v42, v42, v9, s1
	s_delay_alu instid0(VALU_DEP_4) | instskip(NEXT) | instid1(VALU_DEP_3)
	v_cndmask_b32_e64 v9, v9, v15, s1
	v_cndmask_b32_e64 v15, v15, v43, s1
	;; [unrolled: 1-line block ×3, first 2 shown]
	s_delay_alu instid0(VALU_DEP_3) | instskip(NEXT) | instid1(VALU_DEP_3)
	v_alignbit_b32 v45, v42, v9, v44
	v_alignbit_b32 v46, v9, v15, v44
	s_delay_alu instid0(VALU_DEP_3) | instskip(NEXT) | instid1(VALU_DEP_3)
	v_alignbit_b32 v44, v15, v7, v44
	v_cndmask_b32_e64 v0, v45, v42, s2
	s_delay_alu instid0(VALU_DEP_3) | instskip(NEXT) | instid1(VALU_DEP_3)
	v_cndmask_b32_e64 v9, v46, v9, s2
	v_cndmask_b32_e64 v15, v44, v15, s2
	s_delay_alu instid0(VALU_DEP_3) | instskip(NEXT) | instid1(VALU_DEP_3)
	v_bfe_u32 v41, v0, 29, 1
	v_alignbit_b32 v8, v0, v9, 30
	s_delay_alu instid0(VALU_DEP_3) | instskip(SKIP_1) | instid1(VALU_DEP_4)
	v_alignbit_b32 v9, v9, v15, 30
	v_alignbit_b32 v7, v15, v7, 30
	v_sub_nc_u32_e32 v42, 0, v41
	s_delay_alu instid0(VALU_DEP_1) | instskip(SKIP_3) | instid1(VALU_DEP_4)
	v_xor_b32_e32 v43, v8, v42
	v_cmp_ne_u32_e32 vcc_lo, v8, v42
	v_xor_b32_e32 v9, v9, v42
	v_xor_b32_e32 v7, v7, v42
	v_clz_i32_u32_e32 v45, v43
	s_delay_alu instid0(VALU_DEP_1) | instskip(NEXT) | instid1(VALU_DEP_1)
	v_add_nc_u32_e32 v44, 1, v45
	v_cndmask_b32_e32 v8, 33, v44, vcc_lo
	s_delay_alu instid0(VALU_DEP_1) | instskip(NEXT) | instid1(VALU_DEP_1)
	v_sub_nc_u32_e32 v15, 32, v8
	v_alignbit_b32 v42, v43, v9, v15
	v_alignbit_b32 v7, v9, v7, v15
	v_lshrrev_b32_e32 v9, 29, v0
	s_delay_alu instid0(VALU_DEP_2) | instskip(NEXT) | instid1(VALU_DEP_2)
	v_alignbit_b32 v15, v42, v7, 9
	v_lshlrev_b32_e32 v9, 31, v9
	v_alignbit_b32 v42, v8, v42, 9
	s_delay_alu instid0(VALU_DEP_3) | instskip(NEXT) | instid1(VALU_DEP_2)
	v_clz_i32_u32_e32 v43, v15
	v_or_b32_e32 v42, v42, v9
	v_or_b32_e32 v9, 0x33800000, v9
	s_delay_alu instid0(VALU_DEP_3) | instskip(NEXT) | instid1(VALU_DEP_3)
	v_min_u32_e32 v43, 32, v43
	v_xor_b32_e32 v42, 1.0, v42
	s_delay_alu instid0(VALU_DEP_2) | instskip(SKIP_1) | instid1(VALU_DEP_3)
	v_sub_nc_u32_e32 v44, 31, v43
	v_add_lshl_u32 v8, v43, v8, 23
	v_mul_f32_e32 v43, 0x3fc90fda, v42
	s_delay_alu instid0(VALU_DEP_3) | instskip(NEXT) | instid1(VALU_DEP_3)
	v_alignbit_b32 v7, v15, v7, v44
	v_sub_nc_u32_e32 v8, v9, v8
	s_delay_alu instid0(VALU_DEP_3) | instskip(NEXT) | instid1(VALU_DEP_3)
	v_fma_f32 v9, 0x3fc90fda, v42, -v43
	v_lshrrev_b32_e32 v7, 9, v7
	s_delay_alu instid0(VALU_DEP_2) | instskip(NEXT) | instid1(VALU_DEP_2)
	v_fmac_f32_e32 v9, 0x33a22168, v42
	v_or_b32_e32 v7, v8, v7
	s_delay_alu instid0(VALU_DEP_1) | instskip(SKIP_1) | instid1(VALU_DEP_1)
	v_fmac_f32_e32 v9, 0x3fc90fda, v7
	v_lshrrev_b32_e32 v7, 30, v0
	v_dual_add_f32 v0, v43, v9 :: v_dual_add_nc_u32 v7, v41, v7
.LBB12_28:                              ;   in Loop: Header=BB12_9 Depth=1
	s_and_not1_saveexec_b32 s0, s20
	s_cbranch_execz .LBB12_7
; %bb.29:                               ;   in Loop: Header=BB12_9 Depth=1
	v_mul_f32_e64 v0, 0x3f22f983, |v5|
	s_delay_alu instid0(VALU_DEP_1) | instskip(NEXT) | instid1(VALU_DEP_1)
	v_rndne_f32_e32 v7, v0
	v_fma_f32 v0, 0xbfc90fda, v7, |v5|
	s_delay_alu instid0(VALU_DEP_1) | instskip(NEXT) | instid1(VALU_DEP_1)
	v_fmac_f32_e32 v0, 0xb3a22168, v7
	v_fmac_f32_e32 v0, 0xa7c234c4, v7
	v_cvt_i32_f32_e32 v7, v7
	s_branch .LBB12_7
.LBB12_30:
	s_endpgm
.LBB12_31:
                                        ; implicit-def: $sgpr2_sgpr3
	s_branch .LBB12_4
	.section	.rodata,"a",@progbits
	.p2align	6, 0x0
	.amdhsa_kernel _ZN2at6native12_GLOBAL__N_143distribution_elementwise_grid_stride_kernelIfLi4EZNS0_9templates4cuda21uniform_and_transformIN3c108BFloat16EfPNS_17CUDAGeneratorImplEZZZNS4_13cauchy_kernelIS9_EEvRNS_18TensorIteratorBaseEddT_ENKUlvE_clEvENKUlvE2_clEvEUlfE_EEvSC_T1_T2_EUlP25hiprandStatePhilox4_32_10E_ZNS1_27distribution_nullary_kernelIS7_f15HIP_vector_typeIdLj2EES9_SL_SG_EEvSC_SI_RKT3_T4_EUlifE_EEvlNS_15PhiloxCudaStateESH_SI_
		.amdhsa_group_segment_fixed_size 0
		.amdhsa_private_segment_fixed_size 0
		.amdhsa_kernarg_size 328
		.amdhsa_user_sgpr_count 15
		.amdhsa_user_sgpr_dispatch_ptr 0
		.amdhsa_user_sgpr_queue_ptr 0
		.amdhsa_user_sgpr_kernarg_segment_ptr 1
		.amdhsa_user_sgpr_dispatch_id 0
		.amdhsa_user_sgpr_private_segment_size 0
		.amdhsa_wavefront_size32 1
		.amdhsa_uses_dynamic_stack 0
		.amdhsa_enable_private_segment 0
		.amdhsa_system_sgpr_workgroup_id_x 1
		.amdhsa_system_sgpr_workgroup_id_y 0
		.amdhsa_system_sgpr_workgroup_id_z 0
		.amdhsa_system_sgpr_workgroup_info 0
		.amdhsa_system_vgpr_workitem_id 0
		.amdhsa_next_free_vgpr 49
		.amdhsa_next_free_sgpr 23
		.amdhsa_reserve_vcc 1
		.amdhsa_float_round_mode_32 0
		.amdhsa_float_round_mode_16_64 0
		.amdhsa_float_denorm_mode_32 3
		.amdhsa_float_denorm_mode_16_64 3
		.amdhsa_dx10_clamp 1
		.amdhsa_ieee_mode 1
		.amdhsa_fp16_overflow 0
		.amdhsa_workgroup_processor_mode 1
		.amdhsa_memory_ordered 1
		.amdhsa_forward_progress 0
		.amdhsa_shared_vgpr_count 0
		.amdhsa_exception_fp_ieee_invalid_op 0
		.amdhsa_exception_fp_denorm_src 0
		.amdhsa_exception_fp_ieee_div_zero 0
		.amdhsa_exception_fp_ieee_overflow 0
		.amdhsa_exception_fp_ieee_underflow 0
		.amdhsa_exception_fp_ieee_inexact 0
		.amdhsa_exception_int_div_zero 0
	.end_amdhsa_kernel
	.section	.text._ZN2at6native12_GLOBAL__N_143distribution_elementwise_grid_stride_kernelIfLi4EZNS0_9templates4cuda21uniform_and_transformIN3c108BFloat16EfPNS_17CUDAGeneratorImplEZZZNS4_13cauchy_kernelIS9_EEvRNS_18TensorIteratorBaseEddT_ENKUlvE_clEvENKUlvE2_clEvEUlfE_EEvSC_T1_T2_EUlP25hiprandStatePhilox4_32_10E_ZNS1_27distribution_nullary_kernelIS7_f15HIP_vector_typeIdLj2EES9_SL_SG_EEvSC_SI_RKT3_T4_EUlifE_EEvlNS_15PhiloxCudaStateESH_SI_,"axG",@progbits,_ZN2at6native12_GLOBAL__N_143distribution_elementwise_grid_stride_kernelIfLi4EZNS0_9templates4cuda21uniform_and_transformIN3c108BFloat16EfPNS_17CUDAGeneratorImplEZZZNS4_13cauchy_kernelIS9_EEvRNS_18TensorIteratorBaseEddT_ENKUlvE_clEvENKUlvE2_clEvEUlfE_EEvSC_T1_T2_EUlP25hiprandStatePhilox4_32_10E_ZNS1_27distribution_nullary_kernelIS7_f15HIP_vector_typeIdLj2EES9_SL_SG_EEvSC_SI_RKT3_T4_EUlifE_EEvlNS_15PhiloxCudaStateESH_SI_,comdat
.Lfunc_end12:
	.size	_ZN2at6native12_GLOBAL__N_143distribution_elementwise_grid_stride_kernelIfLi4EZNS0_9templates4cuda21uniform_and_transformIN3c108BFloat16EfPNS_17CUDAGeneratorImplEZZZNS4_13cauchy_kernelIS9_EEvRNS_18TensorIteratorBaseEddT_ENKUlvE_clEvENKUlvE2_clEvEUlfE_EEvSC_T1_T2_EUlP25hiprandStatePhilox4_32_10E_ZNS1_27distribution_nullary_kernelIS7_f15HIP_vector_typeIdLj2EES9_SL_SG_EEvSC_SI_RKT3_T4_EUlifE_EEvlNS_15PhiloxCudaStateESH_SI_, .Lfunc_end12-_ZN2at6native12_GLOBAL__N_143distribution_elementwise_grid_stride_kernelIfLi4EZNS0_9templates4cuda21uniform_and_transformIN3c108BFloat16EfPNS_17CUDAGeneratorImplEZZZNS4_13cauchy_kernelIS9_EEvRNS_18TensorIteratorBaseEddT_ENKUlvE_clEvENKUlvE2_clEvEUlfE_EEvSC_T1_T2_EUlP25hiprandStatePhilox4_32_10E_ZNS1_27distribution_nullary_kernelIS7_f15HIP_vector_typeIdLj2EES9_SL_SG_EEvSC_SI_RKT3_T4_EUlifE_EEvlNS_15PhiloxCudaStateESH_SI_
                                        ; -- End function
	.section	.AMDGPU.csdata,"",@progbits
; Kernel info:
; codeLenInByte = 4884
; NumSgprs: 25
; NumVgprs: 49
; ScratchSize: 0
; MemoryBound: 0
; FloatMode: 240
; IeeeMode: 1
; LDSByteSize: 0 bytes/workgroup (compile time only)
; SGPRBlocks: 3
; VGPRBlocks: 6
; NumSGPRsForWavesPerEU: 25
; NumVGPRsForWavesPerEU: 49
; Occupancy: 16
; WaveLimiterHint : 0
; COMPUTE_PGM_RSRC2:SCRATCH_EN: 0
; COMPUTE_PGM_RSRC2:USER_SGPR: 15
; COMPUTE_PGM_RSRC2:TRAP_HANDLER: 0
; COMPUTE_PGM_RSRC2:TGID_X_EN: 1
; COMPUTE_PGM_RSRC2:TGID_Y_EN: 0
; COMPUTE_PGM_RSRC2:TGID_Z_EN: 0
; COMPUTE_PGM_RSRC2:TIDIG_COMP_CNT: 0
	.section	.text._ZN2at6native12_GLOBAL__N_143distribution_elementwise_grid_stride_kernelIfLi4EZNS0_9templates4cuda21uniform_and_transformIN3c108BFloat16EfPNS_17CUDAGeneratorImplEZZZNS4_13cauchy_kernelIS9_EEvRNS_18TensorIteratorBaseEddT_ENKUlvE_clEvENKUlvE2_clEvEUlfE_EEvSC_T1_T2_EUlP25hiprandStatePhilox4_32_10E_ZNS1_27distribution_nullary_kernelIS7_f15HIP_vector_typeIdLj2EES9_SL_SG_EEvSC_SI_RKT3_T4_EUlifE0_EEvlNS_15PhiloxCudaStateESH_SI_,"axG",@progbits,_ZN2at6native12_GLOBAL__N_143distribution_elementwise_grid_stride_kernelIfLi4EZNS0_9templates4cuda21uniform_and_transformIN3c108BFloat16EfPNS_17CUDAGeneratorImplEZZZNS4_13cauchy_kernelIS9_EEvRNS_18TensorIteratorBaseEddT_ENKUlvE_clEvENKUlvE2_clEvEUlfE_EEvSC_T1_T2_EUlP25hiprandStatePhilox4_32_10E_ZNS1_27distribution_nullary_kernelIS7_f15HIP_vector_typeIdLj2EES9_SL_SG_EEvSC_SI_RKT3_T4_EUlifE0_EEvlNS_15PhiloxCudaStateESH_SI_,comdat
	.globl	_ZN2at6native12_GLOBAL__N_143distribution_elementwise_grid_stride_kernelIfLi4EZNS0_9templates4cuda21uniform_and_transformIN3c108BFloat16EfPNS_17CUDAGeneratorImplEZZZNS4_13cauchy_kernelIS9_EEvRNS_18TensorIteratorBaseEddT_ENKUlvE_clEvENKUlvE2_clEvEUlfE_EEvSC_T1_T2_EUlP25hiprandStatePhilox4_32_10E_ZNS1_27distribution_nullary_kernelIS7_f15HIP_vector_typeIdLj2EES9_SL_SG_EEvSC_SI_RKT3_T4_EUlifE0_EEvlNS_15PhiloxCudaStateESH_SI_ ; -- Begin function _ZN2at6native12_GLOBAL__N_143distribution_elementwise_grid_stride_kernelIfLi4EZNS0_9templates4cuda21uniform_and_transformIN3c108BFloat16EfPNS_17CUDAGeneratorImplEZZZNS4_13cauchy_kernelIS9_EEvRNS_18TensorIteratorBaseEddT_ENKUlvE_clEvENKUlvE2_clEvEUlfE_EEvSC_T1_T2_EUlP25hiprandStatePhilox4_32_10E_ZNS1_27distribution_nullary_kernelIS7_f15HIP_vector_typeIdLj2EES9_SL_SG_EEvSC_SI_RKT3_T4_EUlifE0_EEvlNS_15PhiloxCudaStateESH_SI_
	.p2align	8
	.type	_ZN2at6native12_GLOBAL__N_143distribution_elementwise_grid_stride_kernelIfLi4EZNS0_9templates4cuda21uniform_and_transformIN3c108BFloat16EfPNS_17CUDAGeneratorImplEZZZNS4_13cauchy_kernelIS9_EEvRNS_18TensorIteratorBaseEddT_ENKUlvE_clEvENKUlvE2_clEvEUlfE_EEvSC_T1_T2_EUlP25hiprandStatePhilox4_32_10E_ZNS1_27distribution_nullary_kernelIS7_f15HIP_vector_typeIdLj2EES9_SL_SG_EEvSC_SI_RKT3_T4_EUlifE0_EEvlNS_15PhiloxCudaStateESH_SI_,@function
_ZN2at6native12_GLOBAL__N_143distribution_elementwise_grid_stride_kernelIfLi4EZNS0_9templates4cuda21uniform_and_transformIN3c108BFloat16EfPNS_17CUDAGeneratorImplEZZZNS4_13cauchy_kernelIS9_EEvRNS_18TensorIteratorBaseEddT_ENKUlvE_clEvENKUlvE2_clEvEUlfE_EEvSC_T1_T2_EUlP25hiprandStatePhilox4_32_10E_ZNS1_27distribution_nullary_kernelIS7_f15HIP_vector_typeIdLj2EES9_SL_SG_EEvSC_SI_RKT3_T4_EUlifE0_EEvlNS_15PhiloxCudaStateESH_SI_: ; @_ZN2at6native12_GLOBAL__N_143distribution_elementwise_grid_stride_kernelIfLi4EZNS0_9templates4cuda21uniform_and_transformIN3c108BFloat16EfPNS_17CUDAGeneratorImplEZZZNS4_13cauchy_kernelIS9_EEvRNS_18TensorIteratorBaseEddT_ENKUlvE_clEvENKUlvE2_clEvEUlfE_EEvSC_T1_T2_EUlP25hiprandStatePhilox4_32_10E_ZNS1_27distribution_nullary_kernelIS7_f15HIP_vector_typeIdLj2EES9_SL_SG_EEvSC_SI_RKT3_T4_EUlifE0_EEvlNS_15PhiloxCudaStateESH_SI_
; %bb.0:
	s_clause 0x2
	s_load_b64 s[4:5], s[0:1], 0x10
	s_load_b128 s[16:19], s[0:1], 0x0
	s_load_b32 s2, s[0:1], 0x20
	s_waitcnt lgkmcnt(0)
	v_dual_mov_b32 v2, s4 :: v_dual_mov_b32 v3, s5
	v_dual_mov_b32 v10, s18 :: v_dual_mov_b32 v11, s19
	s_bitcmp0_b32 s2, 0
	s_mov_b32 s2, 0
	s_cbranch_scc1 .LBB13_2
; %bb.1:
	v_dual_mov_b32 v1, s4 :: v_dual_mov_b32 v2, s5
	v_dual_mov_b32 v4, s18 :: v_dual_mov_b32 v5, s19
	s_load_b64 s[4:5], s[0:1], 0x18
	flat_load_b64 v[2:3], v[1:2]
	flat_load_b64 v[10:11], v[4:5]
	s_waitcnt vmcnt(1) lgkmcnt(0)
	v_add_co_u32 v2, vcc_lo, v2, s4
	v_add_co_ci_u32_e32 v3, vcc_lo, s5, v3, vcc_lo
.LBB13_2:
	s_clause 0x1
	s_load_b32 s3, s[0:1], 0x154
	s_load_b32 s4, s[0:1], 0x148
	s_waitcnt lgkmcnt(0)
	s_and_b32 s5, s3, 0xffff
	s_add_u32 s6, s16, -1
	s_mul_i32 s26, s4, s5
	s_addc_u32 s3, s17, -1
	s_lshl_b32 s27, s26, 2
	s_cmp_lg_u64 s[2:3], 0
	s_cbranch_scc0 .LBB13_57
; %bb.3:
	v_cvt_f32_ubyte0_e32 v1, 0
	v_cvt_f32_u32_e32 v4, s27
	s_sub_u32 s8, 0, s27
	s_subb_u32 s9, 0, 0
	s_delay_alu instid0(VALU_DEP_1) | instskip(NEXT) | instid1(VALU_DEP_1)
	v_fmamk_f32 v1, v1, 0x4f800000, v4
	v_rcp_f32_e32 v1, v1
	s_waitcnt_depctr 0xfff
	v_mul_f32_e32 v1, 0x5f7ffffc, v1
	s_delay_alu instid0(VALU_DEP_1) | instskip(NEXT) | instid1(VALU_DEP_1)
	v_mul_f32_e32 v4, 0x2f800000, v1
	v_trunc_f32_e32 v4, v4
	s_delay_alu instid0(VALU_DEP_1) | instskip(SKIP_1) | instid1(VALU_DEP_2)
	v_fmamk_f32 v1, v4, 0xcf800000, v1
	v_cvt_u32_f32_e32 v4, v4
	v_cvt_u32_f32_e32 v1, v1
	s_delay_alu instid0(VALU_DEP_2) | instskip(NEXT) | instid1(VALU_DEP_2)
	v_readfirstlane_b32 s2, v4
	v_readfirstlane_b32 s7, v1
	s_delay_alu instid0(VALU_DEP_2) | instskip(NEXT) | instid1(VALU_DEP_1)
	s_mul_i32 s10, s8, s2
	s_mul_hi_u32 s12, s8, s7
	s_mul_i32 s11, s9, s7
	s_add_i32 s10, s12, s10
	s_mul_i32 s13, s8, s7
	s_add_i32 s10, s10, s11
	s_mul_hi_u32 s12, s7, s13
	s_mul_hi_u32 s14, s2, s13
	s_mul_i32 s11, s2, s13
	s_mul_hi_u32 s13, s7, s10
	s_mul_i32 s7, s7, s10
	s_mul_hi_u32 s18, s2, s10
	s_add_u32 s7, s12, s7
	s_addc_u32 s12, 0, s13
	s_add_u32 s7, s7, s11
	s_mul_i32 s10, s2, s10
	s_addc_u32 s7, s12, s14
	s_addc_u32 s11, s18, 0
	s_add_u32 s7, s7, s10
	s_addc_u32 s10, 0, s11
	v_add_co_u32 v1, s7, v1, s7
	s_delay_alu instid0(VALU_DEP_1) | instskip(SKIP_1) | instid1(VALU_DEP_1)
	s_cmp_lg_u32 s7, 0
	s_addc_u32 s2, s2, s10
	v_readfirstlane_b32 s7, v1
	s_mul_i32 s10, s8, s2
	s_delay_alu instid0(VALU_DEP_1)
	s_mul_hi_u32 s11, s8, s7
	s_mul_i32 s9, s9, s7
	s_add_i32 s10, s11, s10
	s_mul_i32 s8, s8, s7
	s_add_i32 s10, s10, s9
	s_mul_hi_u32 s11, s2, s8
	s_mul_i32 s12, s2, s8
	s_mul_hi_u32 s8, s7, s8
	s_mul_hi_u32 s13, s7, s10
	s_mul_i32 s7, s7, s10
	s_mul_hi_u32 s9, s2, s10
	s_add_u32 s7, s8, s7
	s_addc_u32 s8, 0, s13
	s_add_u32 s7, s7, s12
	s_mul_i32 s10, s2, s10
	s_addc_u32 s7, s8, s11
	s_addc_u32 s8, s9, 0
	s_add_u32 s7, s7, s10
	s_addc_u32 s8, 0, s8
	v_add_co_u32 v1, s7, v1, s7
	s_delay_alu instid0(VALU_DEP_1) | instskip(SKIP_2) | instid1(VALU_DEP_1)
	s_cmp_lg_u32 s7, 0
	s_addc_u32 s7, s2, s8
	s_ashr_i32 s8, s3, 31
	v_readfirstlane_b32 s10, v1
	s_add_u32 s2, s6, s8
	s_mov_b32 s9, s8
	s_addc_u32 s3, s3, s8
	s_delay_alu instid0(SALU_CYCLE_1) | instskip(NEXT) | instid1(SALU_CYCLE_1)
	s_xor_b64 s[2:3], s[2:3], s[8:9]
	s_mul_i32 s12, s2, s7
	s_mul_hi_u32 s13, s2, s10
	s_mul_hi_u32 s11, s2, s7
	;; [unrolled: 1-line block ×3, first 2 shown]
	s_mul_i32 s10, s3, s10
	s_add_u32 s12, s13, s12
	s_addc_u32 s11, 0, s11
	s_mul_hi_u32 s14, s3, s7
	s_add_u32 s10, s12, s10
	s_mul_i32 s7, s3, s7
	s_addc_u32 s10, s11, s18
	s_addc_u32 s11, s14, 0
	s_add_u32 s7, s10, s7
	s_addc_u32 s10, 0, s11
	s_mul_i32 s12, s27, s7
	s_add_u32 s11, s7, 1
	v_sub_co_u32 v1, s2, s2, s12
	s_mul_hi_u32 s12, s27, s7
	s_addc_u32 s13, s10, 0
	s_mul_i32 s14, s27, s10
	s_delay_alu instid0(VALU_DEP_1)
	v_sub_co_u32 v4, s18, v1, s27
	s_add_u32 s19, s7, 2
	s_addc_u32 s20, s10, 0
	s_add_i32 s12, s12, s14
	s_cmp_lg_u32 s2, 0
	v_readfirstlane_b32 s2, v4
	s_subb_u32 s3, s3, s12
	s_cmp_lg_u32 s18, 0
	s_subb_u32 s12, s3, 0
	s_delay_alu instid0(VALU_DEP_1) | instskip(SKIP_4) | instid1(SALU_CYCLE_1)
	s_cmp_ge_u32 s2, s27
	s_cselect_b32 s2, -1, 0
	s_cmp_eq_u32 s12, 0
	v_readfirstlane_b32 s12, v1
	s_cselect_b32 s2, s2, -1
	s_cmp_lg_u32 s2, 0
	s_cselect_b32 s2, s19, s11
	s_cselect_b32 s11, s20, s13
	s_cmp_ge_u32 s12, s27
	s_cselect_b32 s12, -1, 0
	s_cmp_eq_u32 s3, 0
	s_cselect_b32 s3, s12, -1
	s_delay_alu instid0(SALU_CYCLE_1) | instskip(SKIP_2) | instid1(SALU_CYCLE_1)
	s_cmp_lg_u32 s3, 0
	s_cselect_b32 s3, s11, s10
	s_cselect_b32 s2, s2, s7
	s_xor_b64 s[2:3], s[2:3], s[8:9]
	s_delay_alu instid0(SALU_CYCLE_1)
	s_sub_u32 s2, s2, s8
	s_subb_u32 s3, s3, s8
	s_cbranch_execnz .LBB13_5
.LBB13_4:
	v_cvt_f32_u32_e32 v1, s27
	s_sub_i32 s3, 0, s27
	s_delay_alu instid0(VALU_DEP_1) | instskip(SKIP_2) | instid1(VALU_DEP_1)
	v_rcp_iflag_f32_e32 v1, v1
	s_waitcnt_depctr 0xfff
	v_mul_f32_e32 v1, 0x4f7ffffe, v1
	v_cvt_u32_f32_e32 v1, v1
	s_delay_alu instid0(VALU_DEP_1) | instskip(NEXT) | instid1(VALU_DEP_1)
	v_readfirstlane_b32 s2, v1
	s_mul_i32 s3, s3, s2
	s_delay_alu instid0(SALU_CYCLE_1) | instskip(NEXT) | instid1(SALU_CYCLE_1)
	s_mul_hi_u32 s3, s2, s3
	s_add_i32 s2, s2, s3
	s_delay_alu instid0(SALU_CYCLE_1) | instskip(NEXT) | instid1(SALU_CYCLE_1)
	s_mul_hi_u32 s2, s6, s2
	s_mul_i32 s3, s2, s27
	s_delay_alu instid0(SALU_CYCLE_1)
	s_sub_i32 s3, s6, s3
	s_add_i32 s6, s2, 1
	s_sub_i32 s7, s3, s27
	s_cmp_ge_u32 s3, s27
	s_cselect_b32 s2, s6, s2
	s_cselect_b32 s3, s7, s3
	s_add_i32 s6, s2, 1
	s_cmp_ge_u32 s3, s27
	s_mov_b32 s3, 0
	s_cselect_b32 s2, s6, s2
.LBB13_5:
	v_mov_b32_e32 v1, 0
	s_add_u32 s2, s2, 1
	s_addc_u32 s3, s3, 0
	s_mul_hi_u32 s6, s26, s2
	s_mul_i32 s3, s26, s3
	v_mad_u64_u32 v[12:13], null, s5, s15, v[0:1]
	s_mul_hi_u32 s4, s4, s5
	s_add_i32 s3, s6, s3
	s_mul_i32 s4, s4, s2
	s_mul_i32 s2, s26, s2
	s_add_i32 s3, s3, s4
	s_delay_alu instid0(SALU_CYCLE_1)
	s_lshl_b64 s[18:19], s[2:3], 2
	s_mov_b32 s2, exec_lo
	v_cmpx_gt_i64_e64 s[18:19], v[12:13]
	s_cbranch_execz .LBB13_56
; %bb.6:
	v_alignbit_b32 v17, v3, v2, 2
	v_mad_u64_u32 v[6:7], null, 0xcd9e8d57, v12, 0
	v_lshrrev_b32_e32 v18, 2, v3
	s_waitcnt vmcnt(0)
	v_dual_mov_b32 v16, v11 :: v_dual_and_b32 v25, 3, v2
	v_mad_u64_u32 v[4:5], null, 0xd2511f53, v17, 0
	v_add_co_u32 v20, null, 0x9e3779b9, v10
	v_xor3_b32 v3, v10, v7, v18
	s_delay_alu instid0(VALU_DEP_4) | instskip(SKIP_2) | instid1(VALU_DEP_4)
	v_add_co_u32 v19, null, 0xbb67ae85, v16
	v_add_co_u32 v21, null, 0x3c6ef372, v10
	v_xor_b32_e32 v0, v5, v11
	v_mad_u64_u32 v[7:8], null, 0xd2511f53, v3, 0
	v_add_co_u32 v22, null, 0x76cf5d0a, v16
	s_delay_alu instid0(VALU_DEP_3) | instskip(SKIP_2) | instid1(VALU_DEP_3)
	v_xor_b32_e32 v0, v0, v13
	v_add_co_u32 v23, null, 0x32370b8f, v16
	v_add_co_u32 v24, null, 0xdaa66d2b, v10
	v_mad_u64_u32 v[14:15], null, 0xcd9e8d57, v0, 0
	v_xor3_b32 v0, v19, v8, v4
	v_add_co_u32 v28, null, 0x78dde6e4, v10
	v_add_co_u32 v29, null, 0xed9eba14, v16
	s_delay_alu instid0(VALU_DEP_3) | instskip(SKIP_3) | instid1(VALU_DEP_3)
	v_mad_u64_u32 v[3:4], null, 0xcd9e8d57, v0, 0
	v_xor3_b32 v8, v20, v15, v6
	v_add_co_u32 v31, null, 0xa9066899, v16
	v_add_co_u32 v32, null, 0x1715609d, v10
	v_mad_u64_u32 v[5:6], null, 0xd2511f53, v8, 0
	v_xor3_b32 v0, v21, v4, v14
	v_add_co_u32 v33, null, 0xb54cda56, v10
	v_add_co_u32 v35, null, 0x646e171e, v16
	s_load_b256 s[4:11], s[0:1], 0x30
	s_delay_alu instid0(VALU_DEP_4) | instskip(SKIP_2) | instid1(VALU_DEP_3)
	v_xor3_b32 v4, v22, v6, v7
	v_mad_u64_u32 v[6:7], null, 0xd2511f53, v0, 0
	v_add_co_u32 v30, null, 0x5384540f, v10
	v_mad_u64_u32 v[8:9], null, 0xcd9e8d57, v4, 0
	v_add_co_u32 v36, null, 0x1fd5c5a3, v16
	s_delay_alu instid0(VALU_DEP_4) | instskip(SKIP_3) | instid1(VALU_DEP_4)
	v_xor3_b32 v0, v23, v7, v5
	v_add_co_u32 v34, null, 0xf1bbcdc8, v10
	v_add_co_u32 v37, null, 0xdb3d7428, v16
	v_xor3_b32 v7, v24, v9, v3
	v_mad_u64_u32 v[2:3], null, 0xcd9e8d57, v0, 0
	s_add_u32 s20, s0, 48
	s_addc_u32 s21, s1, 0
	s_delay_alu instid0(VALU_DEP_2)
	v_mad_u64_u32 v[4:5], null, 0xd2511f53, v7, 0
	s_waitcnt lgkmcnt(0)
	s_add_i32 s2, s4, -1
	s_clause 0x1
	s_load_b64 s[22:23], s[0:1], 0xf4
	s_load_b128 s[12:15], s[0:1], 0x138
	v_xor3_b32 v0, v28, v3, v8
	s_cmp_lt_u32 s2, 2
	v_add_nc_u32_e32 v26, 0x8ff34781, v10
	s_cselect_b32 s11, -1, 0
	v_xor3_b32 v3, v29, v5, v6
	v_mad_u64_u32 v[5:6], null, 0xd2511f53, v0, 0
	s_cmp_lg_u32 s4, 0
	v_dual_mov_b32 v38, v12 :: v_dual_add_nc_u32 v27, 0x96a522ad, v11
	s_delay_alu instid0(VALU_DEP_3) | instskip(SKIP_1) | instid1(VALU_DEP_3)
	v_mad_u64_u32 v[7:8], null, 0xcd9e8d57, v3, 0
	s_cselect_b32 s29, -1, 0
	v_xor3_b32 v0, v31, v6, v4
	s_add_u32 s24, s0, 0xf4
	s_addc_u32 s25, s1, 0
	s_min_u32 s0, s2, 15
	s_cmp_gt_u32 s4, 1
	s_delay_alu instid0(VALU_DEP_2) | instskip(SKIP_3) | instid1(VALU_DEP_2)
	v_xor3_b32 v4, v32, v8, v2
	v_mad_u64_u32 v[2:3], null, 0xcd9e8d57, v0, 0
	s_cselect_b32 s4, -1, 0
	s_add_i32 s0, s0, 1
	v_mad_u64_u32 v[8:9], null, 0xd2511f53, v4, 0
	s_and_b32 s30, s0, 3
	s_cmp_lg_u32 s2, 2
	s_delay_alu instid0(VALU_DEP_2) | instskip(SKIP_3) | instid1(VALU_DEP_2)
	v_xor3_b32 v0, v33, v3, v7
	s_cselect_b32 s31, -1, 0
	s_and_b32 s33, s0, 28
	s_cmp_lg_u32 s30, 0
	v_xor3_b32 v7, v35, v9, v5
	v_mad_u64_u32 v[3:4], null, 0xd2511f53, v0, 0
	s_mov_b32 s28, 0
	s_cselect_b32 s34, -1, 0
	s_delay_alu instid0(VALU_DEP_2) | instskip(SKIP_2) | instid1(VALU_DEP_2)
	v_mad_u64_u32 v[5:6], null, 0xcd9e8d57, v7, 0
	s_mov_b32 s35, 0x7fffff
	s_mov_b32 s36, 0xbc8cedd3
	v_xor3_b32 v0, v36, v4, v8
	s_mov_b32 s37, 0x3c971480
	s_delay_alu instid0(VALU_DEP_2) | instskip(NEXT) | instid1(VALU_DEP_2)
	v_xor3_b32 v2, v30, v6, v2
	v_mad_u64_u32 v[14:15], null, 0xcd9e8d57, v0, 0
	s_delay_alu instid0(VALU_DEP_2) | instskip(NEXT) | instid1(VALU_DEP_2)
	v_mad_u64_u32 v[39:40], null, 0xd2511f53, v2, 0
	v_xor3_b32 v0, v34, v15, v5
	s_delay_alu instid0(VALU_DEP_2) | instskip(NEXT) | instid1(VALU_DEP_2)
	v_xor3_b32 v4, v37, v40, v3
	v_mad_u64_u32 v[2:3], null, 0xd2511f53, v0, 0
	s_delay_alu instid0(VALU_DEP_2) | instskip(NEXT) | instid1(VALU_DEP_2)
	v_mad_u64_u32 v[6:7], null, 0xcd9e8d57, v4, 0
	v_mov_b32_e32 v8, v2
	s_delay_alu instid0(VALU_DEP_2) | instskip(NEXT) | instid1(VALU_DEP_4)
	v_xor3_b32 v5, v7, v14, v26
	v_xor3_b32 v7, v3, v39, v27
	v_mov_b32_e32 v39, v13
	s_branch .LBB13_9
.LBB13_7:                               ;   in Loop: Header=BB13_9 Depth=1
	s_or_b32 exec_lo, exec_lo, s0
	s_delay_alu instid0(VALU_DEP_2) | instskip(NEXT) | instid1(VALU_DEP_1)
	v_mul_f32_e32 v9, v0, v0
	v_dual_fmaak_f32 v15, s37, v9, 0xbf039337 :: v_dual_and_b32 v8, 1, v8
	v_fmaak_f32 v16, s36, v9, 0x3ec54587
	s_delay_alu instid0(VALU_DEP_2) | instskip(NEXT) | instid1(VALU_DEP_3)
	v_cmp_eq_u32_e32 vcc_lo, 0, v8
	v_fmaak_f32 v15, v9, v15, 0x3f93f425
	s_delay_alu instid0(VALU_DEP_1) | instskip(SKIP_2) | instid1(VALU_DEP_1)
	v_rcp_f32_e32 v15, v15
	s_waitcnt_depctr 0xfff
	v_mul_f32_e32 v15, v16, v15
	v_mul_f32_e32 v9, v9, v15
	s_delay_alu instid0(VALU_DEP_1) | instskip(NEXT) | instid1(VALU_DEP_1)
	v_fma_f32 v15, v9, v0, v0
	v_rcp_f32_e32 v16, v15
	v_sub_f32_e32 v40, v15, v0
	s_delay_alu instid0(VALU_DEP_1) | instskip(SKIP_2) | instid1(VALU_DEP_1)
	v_fma_f32 v0, v9, v0, -v40
	s_waitcnt_depctr 0xfff
	v_fma_f32 v9, v15, -v16, 1.0
	v_fma_f32 v0, v0, -v16, v9
	s_delay_alu instid0(VALU_DEP_1) | instskip(NEXT) | instid1(VALU_DEP_1)
	v_fma_f32 v0, v0, -v16, -v16
	v_cndmask_b32_e32 v0, v0, v15, vcc_lo
	v_cmp_class_f32_e64 vcc_lo, v6, 0x1f8
	s_delay_alu instid0(VALU_DEP_2) | instskip(NEXT) | instid1(VALU_DEP_1)
	v_xor3_b32 v0, v7, v6, v0
	v_cndmask_b32_e32 v0, 0x7fc00000, v0, vcc_lo
	s_waitcnt lgkmcnt(0)
	s_delay_alu instid0(VALU_DEP_1) | instskip(NEXT) | instid1(VALU_DEP_1)
	v_fma_f32 v0, s15, v0, s14
	v_bfe_u32 v6, v0, 16, 1
	v_cmp_o_f32_e32 vcc_lo, v0, v0
	s_delay_alu instid0(VALU_DEP_2) | instskip(NEXT) | instid1(VALU_DEP_1)
	v_add3_u32 v6, v0, v6, 0x7fff
	v_lshrrev_b32_e32 v6, 16, v6
	s_delay_alu instid0(VALU_DEP_1)
	v_cndmask_b32_e32 v0, 0x7fc0, v6, vcc_lo
	global_store_b16 v5, v0, s[12:13]
.LBB13_8:                               ;   in Loop: Header=BB13_9 Depth=1
	s_or_b32 exec_lo, exec_lo, s38
	v_add_co_u32 v12, vcc_lo, v12, s27
	v_add_co_ci_u32_e32 v13, vcc_lo, 0, v13, vcc_lo
	v_mov_b32_e32 v5, v14
	s_waitcnt lgkmcnt(0)
	s_waitcnt_vscnt null, 0x0
	s_barrier
	v_cmp_le_i64_e32 vcc_lo, s[18:19], v[12:13]
	buffer_gl0_inv
	v_mov_b32_e32 v8, v5
	v_dual_mov_b32 v7, v4 :: v_dual_mov_b32 v6, v3
	v_mov_b32_e32 v5, v2
	s_or_b32 s28, vcc_lo, s28
	s_delay_alu instid0(SALU_CYCLE_1)
	s_and_not1_b32 exec_lo, exec_lo, s28
	s_cbranch_execz .LBB13_56
.LBB13_9:                               ; =>This Loop Header: Depth=1
                                        ;     Child Loop BB13_28 Depth 2
                                        ;     Child Loop BB13_32 Depth 2
                                        ;     Child Loop BB13_47 Depth 2
                                        ;     Child Loop BB13_51 Depth 2
	v_add_co_u32 v17, vcc_lo, v17, 1
	s_delay_alu instid0(VALU_DEP_1) | instskip(SKIP_1) | instid1(VALU_DEP_3)
	v_cndmask_b32_e64 v0, 0, 1, vcc_lo
	v_add_co_ci_u32_e32 v18, vcc_lo, 0, v18, vcc_lo
	v_mad_u64_u32 v[2:3], null, 0xd2511f53, v17, 0
	s_mov_b32 s0, exec_lo
	s_delay_alu instid0(VALU_DEP_2) | instskip(SKIP_1) | instid1(VALU_DEP_1)
	v_cmp_eq_u32_e32 vcc_lo, 0, v18
	v_cndmask_b32_e32 v0, 0, v0, vcc_lo
	v_add_nc_u32_e32 v38, v0, v38
	s_delay_alu instid0(VALU_DEP_1) | instskip(SKIP_2) | instid1(VALU_DEP_2)
	v_cmp_eq_u32_e32 vcc_lo, 0, v38
	v_mad_u64_u32 v[14:15], null, 0xcd9e8d57, v38, 0
	v_cndmask_b32_e32 v0, 0, v0, vcc_lo
	v_xor3_b32 v9, v15, v10, v18
	s_delay_alu instid0(VALU_DEP_2) | instskip(SKIP_1) | instid1(VALU_DEP_3)
	v_add_nc_u32_e32 v39, v0, v39
	v_xor_b32_e32 v0, v3, v11
	v_mad_u64_u32 v[3:4], null, 0xd2511f53, v9, 0
	s_delay_alu instid0(VALU_DEP_2) | instskip(NEXT) | instid1(VALU_DEP_1)
	v_xor_b32_e32 v0, v39, v0
	v_mad_u64_u32 v[15:16], null, 0xcd9e8d57, v0, 0
	s_delay_alu instid0(VALU_DEP_3) | instskip(NEXT) | instid1(VALU_DEP_1)
	v_xor3_b32 v0, v19, v4, v2
	v_mad_u64_u32 v[40:41], null, 0xcd9e8d57, v0, 0
	s_delay_alu instid0(VALU_DEP_3) | instskip(NEXT) | instid1(VALU_DEP_1)
	v_xor3_b32 v2, v20, v16, v14
	v_mad_u64_u32 v[42:43], null, 0xd2511f53, v2, 0
	s_delay_alu instid0(VALU_DEP_3) | instskip(NEXT) | instid1(VALU_DEP_2)
	v_xor3_b32 v0, v21, v41, v15
	v_xor3_b32 v4, v22, v43, v3
	s_delay_alu instid0(VALU_DEP_2) | instskip(NEXT) | instid1(VALU_DEP_2)
	v_mad_u64_u32 v[2:3], null, 0xd2511f53, v0, 0
	v_mad_u64_u32 v[14:15], null, 0xcd9e8d57, v4, 0
	s_delay_alu instid0(VALU_DEP_2) | instskip(NEXT) | instid1(VALU_DEP_2)
	v_xor3_b32 v0, v23, v3, v42
	v_xor3_b32 v9, v24, v15, v40
	s_delay_alu instid0(VALU_DEP_2) | instskip(NEXT) | instid1(VALU_DEP_2)
	v_mad_u64_u32 v[3:4], null, 0xcd9e8d57, v0, 0
	v_mad_u64_u32 v[15:16], null, 0xd2511f53, v9, 0
	s_delay_alu instid0(VALU_DEP_2) | instskip(NEXT) | instid1(VALU_DEP_2)
	;; [unrolled: 6-line block ×7, first 2 shown]
	v_xor3_b32 v9, v15, v42, v27
	v_xor3_b32 v2, v4, v40, v26
	s_delay_alu instid0(VALU_DEP_2)
	v_mov_b32_e32 v4, v9
	v_cmpx_lt_i32_e32 1, v25
	s_xor_b32 s0, exec_lo, s0
	s_cbranch_execnz .LBB13_12
; %bb.10:                               ;   in Loop: Header=BB13_9 Depth=1
	s_and_not1_saveexec_b32 s0, s0
	s_cbranch_execnz .LBB13_17
.LBB13_11:                              ;   in Loop: Header=BB13_9 Depth=1
	s_or_b32 exec_lo, exec_lo, s0
	s_delay_alu instid0(SALU_CYCLE_1)
	s_mov_b32 s38, exec_lo
	v_cmpx_gt_i64_e64 s[16:17], v[12:13]
	s_cbranch_execnz .LBB13_20
	s_branch .LBB13_38
.LBB13_12:                              ;   in Loop: Header=BB13_9 Depth=1
	s_mov_b32 s1, exec_lo
	v_cmpx_lt_i32_e32 2, v25
	s_xor_b32 s1, exec_lo, s1
; %bb.13:                               ;   in Loop: Header=BB13_9 Depth=1
	v_dual_mov_b32 v6, v8 :: v_dual_mov_b32 v7, v2
	v_mov_b32_e32 v8, v3
	s_delay_alu instid0(VALU_DEP_2) | instskip(NEXT) | instid1(VALU_DEP_3)
	v_mov_b32_e32 v5, v6
	v_mov_b32_e32 v6, v7
	s_delay_alu instid0(VALU_DEP_3)
	v_mov_b32_e32 v7, v8
	v_mov_b32_e32 v8, v9
; %bb.14:                               ;   in Loop: Header=BB13_9 Depth=1
	s_and_not1_saveexec_b32 s1, s1
; %bb.15:                               ;   in Loop: Header=BB13_9 Depth=1
	s_delay_alu instid0(VALU_DEP_1)
	v_dual_mov_b32 v5, v7 :: v_dual_mov_b32 v6, v8
	v_dual_mov_b32 v7, v2 :: v_dual_mov_b32 v8, v3
; %bb.16:                               ;   in Loop: Header=BB13_9 Depth=1
	s_or_b32 exec_lo, exec_lo, s1
	s_and_not1_saveexec_b32 s0, s0
	s_cbranch_execz .LBB13_11
.LBB13_17:                              ;   in Loop: Header=BB13_9 Depth=1
	s_mov_b32 s1, exec_lo
	v_cmpx_eq_u32_e32 1, v25
; %bb.18:                               ;   in Loop: Header=BB13_9 Depth=1
	v_dual_mov_b32 v5, v6 :: v_dual_mov_b32 v6, v7
	v_dual_mov_b32 v7, v8 :: v_dual_mov_b32 v8, v2
; %bb.19:                               ;   in Loop: Header=BB13_9 Depth=1
	s_or_b32 exec_lo, exec_lo, s1
	s_delay_alu instid0(SALU_CYCLE_1) | instskip(NEXT) | instid1(SALU_CYCLE_1)
	s_or_b32 exec_lo, exec_lo, s0
	s_mov_b32 s38, exec_lo
	v_cmpx_gt_i64_e64 s[16:17], v[12:13]
	s_cbranch_execz .LBB13_38
.LBB13_20:                              ;   in Loop: Header=BB13_9 Depth=1
	s_and_b32 vcc_lo, exec_lo, s11
	s_cbranch_vccz .LBB13_24
; %bb.21:                               ;   in Loop: Header=BB13_9 Depth=1
	v_mul_hi_u32 v0, v12, s6
	s_and_not1_b32 vcc_lo, exec_lo, s4
	s_delay_alu instid0(VALU_DEP_1) | instskip(NEXT) | instid1(VALU_DEP_1)
	v_add_nc_u32_e32 v0, v0, v12
	v_lshrrev_b32_e32 v0, s7, v0
	s_delay_alu instid0(VALU_DEP_1) | instskip(NEXT) | instid1(VALU_DEP_1)
	v_mul_lo_u32 v9, v0, s5
	v_sub_nc_u32_e32 v9, v12, v9
	s_waitcnt lgkmcnt(0)
	s_delay_alu instid0(VALU_DEP_1)
	v_mul_lo_u32 v9, v9, s22
	s_cbranch_vccnz .LBB13_23
; %bb.22:                               ;   in Loop: Header=BB13_9 Depth=1
	v_mul_hi_u32 v15, s9, v0
	s_delay_alu instid0(VALU_DEP_1) | instskip(NEXT) | instid1(VALU_DEP_1)
	v_add_nc_u32_e32 v15, v0, v15
	v_lshrrev_b32_e32 v15, s10, v15
	s_delay_alu instid0(VALU_DEP_1) | instskip(NEXT) | instid1(VALU_DEP_1)
	v_mul_lo_u32 v15, v15, s8
	v_sub_nc_u32_e32 v0, v0, v15
	s_delay_alu instid0(VALU_DEP_1) | instskip(NEXT) | instid1(VALU_DEP_1)
	v_mad_u64_u32 v[15:16], null, v0, s23, v[9:10]
	v_mov_b32_e32 v9, v15
.LBB13_23:                              ;   in Loop: Header=BB13_9 Depth=1
	s_cbranch_execz .LBB13_25
	s_branch .LBB13_33
.LBB13_24:                              ;   in Loop: Header=BB13_9 Depth=1
                                        ; implicit-def: $vgpr9
.LBB13_25:                              ;   in Loop: Header=BB13_9 Depth=1
	v_mov_b32_e32 v9, 0
	s_and_not1_b32 vcc_lo, exec_lo, s29
	s_cbranch_vccnz .LBB13_33
; %bb.26:                               ;   in Loop: Header=BB13_9 Depth=1
	s_and_not1_b32 vcc_lo, exec_lo, s31
	s_mov_b32 s0, 0
	s_cbranch_vccnz .LBB13_30
; %bb.27:                               ;   in Loop: Header=BB13_9 Depth=1
	v_dual_mov_b32 v9, 0 :: v_dual_mov_b32 v0, v12
	s_mov_b32 s39, 0
	s_mov_b64 s[0:1], s[20:21]
	s_mov_b64 s[2:3], s[24:25]
.LBB13_28:                              ;   Parent Loop BB13_9 Depth=1
                                        ; =>  This Inner Loop Header: Depth=2
	s_clause 0x1
	s_load_b256 s[40:47], s[0:1], 0x4
	s_load_b128 s[48:51], s[0:1], 0x24
	s_load_b128 s[52:55], s[2:3], 0x0
	s_add_u32 s0, s0, 48
	s_addc_u32 s1, s1, 0
	s_add_i32 s39, s39, 4
	s_add_u32 s2, s2, 16
	s_addc_u32 s3, s3, 0
	s_cmp_lg_u32 s33, s39
	s_waitcnt lgkmcnt(0)
	v_mul_hi_u32 v15, s41, v0
	s_delay_alu instid0(VALU_DEP_1) | instskip(NEXT) | instid1(VALU_DEP_1)
	v_add_nc_u32_e32 v15, v0, v15
	v_lshrrev_b32_e32 v15, s42, v15
	s_delay_alu instid0(VALU_DEP_1) | instskip(SKIP_1) | instid1(VALU_DEP_2)
	v_mul_hi_u32 v16, s44, v15
	v_mul_lo_u32 v42, v15, s40
	v_add_nc_u32_e32 v16, v15, v16
	s_delay_alu instid0(VALU_DEP_2) | instskip(NEXT) | instid1(VALU_DEP_2)
	v_sub_nc_u32_e32 v42, v0, v42
	v_lshrrev_b32_e32 v16, s45, v16
	s_delay_alu instid0(VALU_DEP_2) | instskip(NEXT) | instid1(VALU_DEP_2)
	v_mul_lo_u32 v42, v42, s52
	v_mul_hi_u32 v40, s47, v16
	v_mul_lo_u32 v43, v16, s43
	s_delay_alu instid0(VALU_DEP_2) | instskip(NEXT) | instid1(VALU_DEP_2)
	v_add_nc_u32_e32 v40, v16, v40
	v_sub_nc_u32_e32 v15, v15, v43
	s_delay_alu instid0(VALU_DEP_2) | instskip(NEXT) | instid1(VALU_DEP_2)
	v_lshrrev_b32_e32 v40, s48, v40
	v_mul_lo_u32 v15, v15, s53
	s_delay_alu instid0(VALU_DEP_2) | instskip(NEXT) | instid1(VALU_DEP_2)
	v_mul_hi_u32 v41, s50, v40
	v_add3_u32 v9, v42, v9, v15
	s_delay_alu instid0(VALU_DEP_2) | instskip(NEXT) | instid1(VALU_DEP_1)
	v_add_nc_u32_e32 v41, v40, v41
	v_lshrrev_b32_e32 v0, s51, v41
	v_mul_lo_u32 v41, v40, s46
	s_delay_alu instid0(VALU_DEP_2) | instskip(NEXT) | instid1(VALU_DEP_2)
	v_mul_lo_u32 v44, v0, s49
	v_sub_nc_u32_e32 v16, v16, v41
	s_delay_alu instid0(VALU_DEP_2) | instskip(NEXT) | instid1(VALU_DEP_2)
	v_sub_nc_u32_e32 v40, v40, v44
	v_mul_lo_u32 v16, v16, s54
	s_delay_alu instid0(VALU_DEP_2) | instskip(NEXT) | instid1(VALU_DEP_1)
	v_mul_lo_u32 v40, v40, s55
	v_add3_u32 v9, v16, v9, v40
	s_cbranch_scc1 .LBB13_28
; %bb.29:                               ;   in Loop: Header=BB13_9 Depth=1
	s_mov_b32 s0, s33
	s_and_not1_b32 vcc_lo, exec_lo, s34
	s_cbranch_vccz .LBB13_31
	s_branch .LBB13_33
.LBB13_30:                              ;   in Loop: Header=BB13_9 Depth=1
	v_mov_b32_e32 v0, v12
	s_and_not1_b32 vcc_lo, exec_lo, s34
	s_cbranch_vccnz .LBB13_33
.LBB13_31:                              ;   in Loop: Header=BB13_9 Depth=1
	s_lshl_b32 s1, s0, 2
	s_mul_i32 s2, s0, 12
	s_add_u32 s0, s24, s1
	s_addc_u32 s1, s25, 0
	s_add_u32 s2, s20, s2
	s_addc_u32 s3, s21, 0
	s_mov_b32 s39, s30
	.p2align	6
.LBB13_32:                              ;   Parent Loop BB13_9 Depth=1
                                        ; =>  This Inner Loop Header: Depth=2
	s_clause 0x1
	s_load_b64 s[40:41], s[2:3], 0x4
	s_load_b32 s42, s[2:3], 0xc
	s_add_u32 s2, s2, 12
	s_addc_u32 s3, s3, 0
	s_waitcnt lgkmcnt(0)
	v_mul_hi_u32 v15, s41, v0
	s_load_b32 s41, s[0:1], 0x0
	s_add_u32 s0, s0, 4
	s_addc_u32 s1, s1, 0
	s_add_i32 s39, s39, -1
	s_delay_alu instid0(SALU_CYCLE_1) | instskip(NEXT) | instid1(VALU_DEP_1)
	s_cmp_eq_u32 s39, 0
	v_add_nc_u32_e32 v15, v0, v15
	s_delay_alu instid0(VALU_DEP_1) | instskip(NEXT) | instid1(VALU_DEP_1)
	v_lshrrev_b32_e32 v40, s42, v15
	v_mul_lo_u32 v15, v40, s40
	s_delay_alu instid0(VALU_DEP_1) | instskip(SKIP_1) | instid1(VALU_DEP_1)
	v_sub_nc_u32_e32 v0, v0, v15
	s_waitcnt lgkmcnt(0)
	v_mad_u64_u32 v[15:16], null, v0, s41, v[9:10]
	s_delay_alu instid0(VALU_DEP_1)
	v_dual_mov_b32 v0, v40 :: v_dual_mov_b32 v9, v15
	s_cbranch_scc0 .LBB13_32
.LBB13_33:                              ;   in Loop: Header=BB13_9 Depth=1
	v_lshrrev_b32_e32 v0, 11, v6
	v_cvt_f64_u32_e32 v[5:6], v5
	s_mov_b32 s1, exec_lo
	s_delay_alu instid0(VALU_DEP_2) | instskip(NEXT) | instid1(VALU_DEP_1)
	v_cvt_f64_u32_e32 v[15:16], v0
	v_ldexp_f64 v[15:16], v[15:16], 32
	s_delay_alu instid0(VALU_DEP_1) | instskip(NEXT) | instid1(VALU_DEP_1)
	v_add_f64 v[5:6], v[15:16], v[5:6]
                                        ; implicit-def: $vgpr15
	v_fma_f64 v[5:6], 0x3ca00000, v[5:6], 0x3ca00000
	s_delay_alu instid0(VALU_DEP_1) | instskip(NEXT) | instid1(VALU_DEP_1)
	v_cvt_f32_f64_e32 v0, v[5:6]
	v_cmp_nlt_f32_e32 vcc_lo, 0x3f7ffffe, v0
	v_cndmask_b32_e32 v0, 0x3f7ffffe, v0, vcc_lo
	s_delay_alu instid0(VALU_DEP_1) | instskip(SKIP_1) | instid1(VALU_DEP_1)
	v_cmp_ngt_f32_e32 vcc_lo, 0x34000000, v0
	v_cndmask_b32_e32 v0, 0x34000000, v0, vcc_lo
	v_add_f32_e32 v0, -0.5, v0
	s_delay_alu instid0(VALU_DEP_1) | instskip(NEXT) | instid1(VALU_DEP_1)
	v_mul_f32_e32 v5, 0x40490fdb, v0
                                        ; implicit-def: $vgpr0
	v_and_b32_e32 v6, 0x7fffffff, v5
	v_cmpx_ngt_f32_e64 0x48000000, |v5|
	s_xor_b32 s3, exec_lo, s1
	s_cbranch_execz .LBB13_35
; %bb.34:                               ;   in Loop: Header=BB13_9 Depth=1
	s_delay_alu instid0(VALU_DEP_2) | instskip(NEXT) | instid1(VALU_DEP_1)
	v_and_or_b32 v47, v6, s35, 0x800000
	v_mad_u64_u32 v[15:16], null, 0xfe5163ab, v47, 0
	s_delay_alu instid0(VALU_DEP_1) | instskip(SKIP_1) | instid1(VALU_DEP_2)
	v_mov_b32_e32 v0, v16
	v_lshrrev_b32_e32 v16, 23, v6
	v_mad_u64_u32 v[40:41], null, 0x3c439041, v47, v[0:1]
	s_delay_alu instid0(VALU_DEP_2) | instskip(NEXT) | instid1(VALU_DEP_1)
	v_add_nc_u32_e32 v16, 0xffffff88, v16
	v_cmp_lt_u32_e32 vcc_lo, 63, v16
	s_delay_alu instid0(VALU_DEP_3) | instskip(SKIP_1) | instid1(VALU_DEP_2)
	v_mov_b32_e32 v0, v41
	v_cndmask_b32_e64 v45, 0, 0xffffffc0, vcc_lo
	v_mad_u64_u32 v[41:42], null, 0xdb629599, v47, v[0:1]
	s_delay_alu instid0(VALU_DEP_2) | instskip(NEXT) | instid1(VALU_DEP_2)
	v_add_nc_u32_e32 v16, v45, v16
	v_mov_b32_e32 v0, v42
	s_delay_alu instid0(VALU_DEP_2) | instskip(NEXT) | instid1(VALU_DEP_4)
	v_cmp_lt_u32_e64 s0, 31, v16
	v_cndmask_b32_e32 v15, v41, v15, vcc_lo
	s_delay_alu instid0(VALU_DEP_3) | instskip(NEXT) | instid1(VALU_DEP_3)
	v_mad_u64_u32 v[42:43], null, 0xf534ddc0, v47, v[0:1]
	v_cndmask_b32_e64 v46, 0, 0xffffffe0, s0
	s_delay_alu instid0(VALU_DEP_1) | instskip(NEXT) | instid1(VALU_DEP_3)
	v_add_nc_u32_e32 v16, v46, v16
	v_mov_b32_e32 v0, v43
	s_delay_alu instid0(VALU_DEP_2) | instskip(NEXT) | instid1(VALU_DEP_2)
	v_cmp_lt_u32_e64 s1, 31, v16
	v_mad_u64_u32 v[43:44], null, 0xfc2757d1, v47, v[0:1]
	s_delay_alu instid0(VALU_DEP_1) | instskip(NEXT) | instid1(VALU_DEP_1)
	v_mov_b32_e32 v0, v44
	v_mad_u64_u32 v[44:45], null, 0x4e441529, v47, v[0:1]
	s_delay_alu instid0(VALU_DEP_1) | instskip(NEXT) | instid1(VALU_DEP_1)
	v_mov_b32_e32 v0, v45
	v_mad_u64_u32 v[45:46], null, 0xa2f9836e, v47, v[0:1]
	v_cndmask_b32_e64 v0, 0, 0xffffffe0, s1
	s_delay_alu instid0(VALU_DEP_4) | instskip(NEXT) | instid1(VALU_DEP_2)
	v_cndmask_b32_e32 v47, v44, v42, vcc_lo
	v_dual_cndmask_b32 v45, v45, v43 :: v_dual_add_nc_u32 v0, v0, v16
	s_delay_alu instid0(VALU_DEP_4) | instskip(SKIP_1) | instid1(VALU_DEP_3)
	v_dual_cndmask_b32 v44, v46, v44 :: v_dual_cndmask_b32 v43, v43, v41
	v_cndmask_b32_e32 v16, v42, v40, vcc_lo
	v_cmp_eq_u32_e64 s2, 0, v0
	s_delay_alu instid0(VALU_DEP_4) | instskip(NEXT) | instid1(VALU_DEP_4)
	v_cndmask_b32_e64 v40, v45, v47, s0
	v_cndmask_b32_e64 v42, v44, v45, s0
	;; [unrolled: 1-line block ×3, first 2 shown]
	v_sub_nc_u32_e32 v45, 32, v0
	v_cndmask_b32_e64 v43, v43, v16, s0
	v_cndmask_b32_e64 v15, v16, v15, s0
	;; [unrolled: 1-line block ×4, first 2 shown]
	s_delay_alu instid0(VALU_DEP_4) | instskip(NEXT) | instid1(VALU_DEP_4)
	v_cndmask_b32_e64 v44, v44, v43, s1
	v_cndmask_b32_e64 v15, v43, v15, s1
	s_delay_alu instid0(VALU_DEP_3) | instskip(NEXT) | instid1(VALU_DEP_3)
	v_alignbit_b32 v46, v42, v40, v45
	v_alignbit_b32 v47, v40, v44, v45
	s_delay_alu instid0(VALU_DEP_3) | instskip(NEXT) | instid1(VALU_DEP_3)
	v_alignbit_b32 v45, v44, v15, v45
	v_cndmask_b32_e64 v0, v46, v42, s2
	s_delay_alu instid0(VALU_DEP_3) | instskip(NEXT) | instid1(VALU_DEP_3)
	v_cndmask_b32_e64 v40, v47, v40, s2
	v_cndmask_b32_e64 v44, v45, v44, s2
	s_delay_alu instid0(VALU_DEP_3) | instskip(NEXT) | instid1(VALU_DEP_3)
	v_bfe_u32 v41, v0, 29, 1
	v_alignbit_b32 v16, v0, v40, 30
	s_delay_alu instid0(VALU_DEP_3) | instskip(SKIP_1) | instid1(VALU_DEP_4)
	v_alignbit_b32 v40, v40, v44, 30
	v_alignbit_b32 v15, v44, v15, 30
	v_sub_nc_u32_e32 v42, 0, v41
	s_delay_alu instid0(VALU_DEP_1) | instskip(SKIP_3) | instid1(VALU_DEP_4)
	v_xor_b32_e32 v43, v16, v42
	v_cmp_ne_u32_e32 vcc_lo, v16, v42
	v_xor_b32_e32 v40, v40, v42
	v_xor_b32_e32 v15, v15, v42
	v_clz_i32_u32_e32 v46, v43
	s_delay_alu instid0(VALU_DEP_1) | instskip(NEXT) | instid1(VALU_DEP_1)
	v_add_nc_u32_e32 v45, 1, v46
	v_cndmask_b32_e32 v16, 33, v45, vcc_lo
	s_delay_alu instid0(VALU_DEP_1) | instskip(NEXT) | instid1(VALU_DEP_1)
	v_sub_nc_u32_e32 v44, 32, v16
	v_alignbit_b32 v42, v43, v40, v44
	v_alignbit_b32 v15, v40, v15, v44
	v_lshrrev_b32_e32 v40, 29, v0
	s_delay_alu instid0(VALU_DEP_2) | instskip(NEXT) | instid1(VALU_DEP_2)
	v_alignbit_b32 v43, v42, v15, 9
	v_lshlrev_b32_e32 v40, 31, v40
	v_alignbit_b32 v42, v16, v42, 9
	s_delay_alu instid0(VALU_DEP_3) | instskip(NEXT) | instid1(VALU_DEP_2)
	v_clz_i32_u32_e32 v44, v43
	v_or_b32_e32 v42, v42, v40
	v_or_b32_e32 v40, 0x33800000, v40
	s_delay_alu instid0(VALU_DEP_3) | instskip(NEXT) | instid1(VALU_DEP_3)
	v_min_u32_e32 v44, 32, v44
	v_xor_b32_e32 v42, 1.0, v42
	s_delay_alu instid0(VALU_DEP_2) | instskip(SKIP_1) | instid1(VALU_DEP_3)
	v_sub_nc_u32_e32 v45, 31, v44
	v_add_lshl_u32 v16, v44, v16, 23
	v_mul_f32_e32 v44, 0x3fc90fda, v42
	s_delay_alu instid0(VALU_DEP_3) | instskip(NEXT) | instid1(VALU_DEP_3)
	v_alignbit_b32 v15, v43, v15, v45
	v_sub_nc_u32_e32 v16, v40, v16
	s_delay_alu instid0(VALU_DEP_3) | instskip(NEXT) | instid1(VALU_DEP_3)
	v_fma_f32 v40, 0x3fc90fda, v42, -v44
	v_lshrrev_b32_e32 v15, 9, v15
	s_delay_alu instid0(VALU_DEP_2) | instskip(NEXT) | instid1(VALU_DEP_2)
	v_fmac_f32_e32 v40, 0x33a22168, v42
	v_or_b32_e32 v15, v16, v15
	s_delay_alu instid0(VALU_DEP_1) | instskip(SKIP_1) | instid1(VALU_DEP_1)
	v_fmac_f32_e32 v40, 0x3fc90fda, v15
	v_lshrrev_b32_e32 v15, 30, v0
	v_dual_add_f32 v0, v44, v40 :: v_dual_add_nc_u32 v15, v41, v15
.LBB13_35:                              ;   in Loop: Header=BB13_9 Depth=1
	s_and_not1_saveexec_b32 s0, s3
; %bb.36:                               ;   in Loop: Header=BB13_9 Depth=1
	v_mul_f32_e64 v0, 0x3f22f983, |v5|
	s_delay_alu instid0(VALU_DEP_1) | instskip(NEXT) | instid1(VALU_DEP_1)
	v_rndne_f32_e32 v15, v0
	v_fma_f32 v0, 0xbfc90fda, v15, |v5|
	s_delay_alu instid0(VALU_DEP_1) | instskip(NEXT) | instid1(VALU_DEP_1)
	v_fmac_f32_e32 v0, 0xb3a22168, v15
	v_fmac_f32_e32 v0, 0xa7c234c4, v15
	v_cvt_i32_f32_e32 v15, v15
; %bb.37:                               ;   in Loop: Header=BB13_9 Depth=1
	s_or_b32 exec_lo, exec_lo, s0
	s_delay_alu instid0(VALU_DEP_1) | instskip(NEXT) | instid1(VALU_DEP_1)
	v_dual_mul_f32 v16, v0, v0 :: v_dual_and_b32 v15, 1, v15
	v_fmaak_f32 v40, s37, v16, 0xbf039337
	v_fmaak_f32 v41, s36, v16, 0x3ec54587
	s_delay_alu instid0(VALU_DEP_3) | instskip(NEXT) | instid1(VALU_DEP_3)
	v_cmp_eq_u32_e32 vcc_lo, 0, v15
	v_fmaak_f32 v40, v16, v40, 0x3f93f425
	s_delay_alu instid0(VALU_DEP_1) | instskip(SKIP_2) | instid1(VALU_DEP_1)
	v_rcp_f32_e32 v40, v40
	s_waitcnt_depctr 0xfff
	v_mul_f32_e32 v40, v41, v40
	v_mul_f32_e32 v16, v16, v40
	s_delay_alu instid0(VALU_DEP_1) | instskip(NEXT) | instid1(VALU_DEP_1)
	v_fma_f32 v40, v16, v0, v0
	v_rcp_f32_e32 v41, v40
	v_sub_f32_e32 v42, v40, v0
	s_delay_alu instid0(VALU_DEP_1) | instskip(SKIP_2) | instid1(VALU_DEP_1)
	v_fma_f32 v0, v16, v0, -v42
	s_waitcnt_depctr 0xfff
	v_fma_f32 v16, v40, -v41, 1.0
	v_fma_f32 v0, v0, -v41, v16
	s_delay_alu instid0(VALU_DEP_1) | instskip(NEXT) | instid1(VALU_DEP_1)
	v_fma_f32 v0, v0, -v41, -v41
	v_cndmask_b32_e32 v0, v0, v40, vcc_lo
	v_cmp_class_f32_e64 vcc_lo, v5, 0x1f8
	s_delay_alu instid0(VALU_DEP_2) | instskip(NEXT) | instid1(VALU_DEP_1)
	v_xor3_b32 v0, v6, v5, v0
	v_cndmask_b32_e32 v0, 0x7fc00000, v0, vcc_lo
	s_waitcnt lgkmcnt(0)
	s_delay_alu instid0(VALU_DEP_1) | instskip(NEXT) | instid1(VALU_DEP_1)
	v_fma_f32 v0, s15, v0, s14
	v_bfe_u32 v5, v0, 16, 1
	v_cmp_o_f32_e32 vcc_lo, v0, v0
	s_delay_alu instid0(VALU_DEP_2) | instskip(NEXT) | instid1(VALU_DEP_1)
	v_add3_u32 v5, v0, v5, 0x7fff
	v_lshrrev_b32_e32 v5, 16, v5
	s_delay_alu instid0(VALU_DEP_1)
	v_cndmask_b32_e32 v0, 0x7fc0, v5, vcc_lo
	global_store_b16 v9, v0, s[12:13]
.LBB13_38:                              ;   in Loop: Header=BB13_9 Depth=1
	s_or_b32 exec_lo, exec_lo, s38
	v_add_co_u32 v15, vcc_lo, v12, s26
	v_add_co_ci_u32_e32 v16, vcc_lo, 0, v13, vcc_lo
	s_mov_b32 s38, exec_lo
	s_delay_alu instid0(VALU_DEP_1)
	v_cmpx_gt_i64_e64 s[16:17], v[15:16]
	s_cbranch_execz .LBB13_8
; %bb.39:                               ;   in Loop: Header=BB13_9 Depth=1
	s_and_b32 vcc_lo, exec_lo, s11
	s_cbranch_vccz .LBB13_43
; %bb.40:                               ;   in Loop: Header=BB13_9 Depth=1
	v_mul_hi_u32 v0, v15, s6
	s_and_not1_b32 vcc_lo, exec_lo, s4
	s_delay_alu instid0(VALU_DEP_1) | instskip(NEXT) | instid1(VALU_DEP_1)
	v_add_nc_u32_e32 v0, v0, v15
	v_lshrrev_b32_e32 v0, s7, v0
	s_delay_alu instid0(VALU_DEP_1) | instskip(NEXT) | instid1(VALU_DEP_1)
	v_mul_lo_u32 v5, v0, s5
	v_sub_nc_u32_e32 v5, v15, v5
	s_waitcnt lgkmcnt(0)
	s_delay_alu instid0(VALU_DEP_1)
	v_mul_lo_u32 v5, v5, s22
	s_cbranch_vccnz .LBB13_42
; %bb.41:                               ;   in Loop: Header=BB13_9 Depth=1
	v_mul_hi_u32 v6, s9, v0
	s_delay_alu instid0(VALU_DEP_1) | instskip(NEXT) | instid1(VALU_DEP_1)
	v_add_nc_u32_e32 v6, v0, v6
	v_lshrrev_b32_e32 v6, s10, v6
	s_delay_alu instid0(VALU_DEP_1) | instskip(NEXT) | instid1(VALU_DEP_1)
	v_mul_lo_u32 v6, v6, s8
	v_sub_nc_u32_e32 v0, v0, v6
	s_delay_alu instid0(VALU_DEP_1) | instskip(NEXT) | instid1(VALU_DEP_1)
	v_mad_u64_u32 v[40:41], null, v0, s23, v[5:6]
	v_mov_b32_e32 v5, v40
.LBB13_42:                              ;   in Loop: Header=BB13_9 Depth=1
	s_cbranch_execz .LBB13_44
	s_branch .LBB13_52
.LBB13_43:                              ;   in Loop: Header=BB13_9 Depth=1
                                        ; implicit-def: $vgpr5
.LBB13_44:                              ;   in Loop: Header=BB13_9 Depth=1
	v_mov_b32_e32 v5, 0
	s_and_not1_b32 vcc_lo, exec_lo, s29
	s_cbranch_vccnz .LBB13_52
; %bb.45:                               ;   in Loop: Header=BB13_9 Depth=1
	s_and_not1_b32 vcc_lo, exec_lo, s31
	s_mov_b32 s0, 0
	s_cbranch_vccnz .LBB13_49
; %bb.46:                               ;   in Loop: Header=BB13_9 Depth=1
	v_mov_b32_e32 v5, 0
	s_mov_b32 s39, 0
	s_mov_b64 s[0:1], s[20:21]
	s_mov_b64 s[2:3], s[24:25]
.LBB13_47:                              ;   Parent Loop BB13_9 Depth=1
                                        ; =>  This Inner Loop Header: Depth=2
	s_clause 0x1
	s_load_b256 s[40:47], s[0:1], 0x4
	s_load_b128 s[48:51], s[0:1], 0x24
	s_load_b128 s[52:55], s[2:3], 0x0
	s_add_u32 s0, s0, 48
	s_addc_u32 s1, s1, 0
	s_add_i32 s39, s39, 4
	s_add_u32 s2, s2, 16
	s_addc_u32 s3, s3, 0
	s_cmp_eq_u32 s33, s39
	s_waitcnt lgkmcnt(0)
	v_mul_hi_u32 v0, s41, v15
	s_delay_alu instid0(VALU_DEP_1) | instskip(NEXT) | instid1(VALU_DEP_1)
	v_add_nc_u32_e32 v0, v15, v0
	v_lshrrev_b32_e32 v0, s42, v0
	s_delay_alu instid0(VALU_DEP_1) | instskip(SKIP_1) | instid1(VALU_DEP_2)
	v_mul_hi_u32 v6, s44, v0
	v_mul_lo_u32 v40, v0, s40
	v_add_nc_u32_e32 v6, v0, v6
	s_delay_alu instid0(VALU_DEP_2) | instskip(NEXT) | instid1(VALU_DEP_2)
	v_sub_nc_u32_e32 v40, v15, v40
	v_lshrrev_b32_e32 v6, s45, v6
	s_delay_alu instid0(VALU_DEP_2) | instskip(NEXT) | instid1(VALU_DEP_2)
	v_mul_lo_u32 v40, v40, s52
	v_mul_hi_u32 v9, s47, v6
	v_mul_lo_u32 v41, v6, s43
	s_delay_alu instid0(VALU_DEP_2) | instskip(NEXT) | instid1(VALU_DEP_2)
	v_add_nc_u32_e32 v9, v6, v9
	v_sub_nc_u32_e32 v0, v0, v41
	s_delay_alu instid0(VALU_DEP_2) | instskip(NEXT) | instid1(VALU_DEP_2)
	v_lshrrev_b32_e32 v9, s48, v9
	v_mul_lo_u32 v0, v0, s53
	s_delay_alu instid0(VALU_DEP_2) | instskip(NEXT) | instid1(VALU_DEP_2)
	v_mul_hi_u32 v16, s50, v9
	v_add3_u32 v0, v40, v5, v0
	s_delay_alu instid0(VALU_DEP_2) | instskip(NEXT) | instid1(VALU_DEP_1)
	v_add_nc_u32_e32 v16, v9, v16
	v_lshrrev_b32_e32 v15, s51, v16
	v_mul_lo_u32 v16, v9, s46
	s_delay_alu instid0(VALU_DEP_2) | instskip(NEXT) | instid1(VALU_DEP_2)
	v_mul_lo_u32 v42, v15, s49
	v_sub_nc_u32_e32 v6, v6, v16
	s_delay_alu instid0(VALU_DEP_2) | instskip(NEXT) | instid1(VALU_DEP_2)
	v_sub_nc_u32_e32 v9, v9, v42
	v_mul_lo_u32 v6, v6, s54
	s_delay_alu instid0(VALU_DEP_2) | instskip(NEXT) | instid1(VALU_DEP_1)
	v_mul_lo_u32 v9, v9, s55
	v_add3_u32 v5, v6, v0, v9
	s_cbranch_scc0 .LBB13_47
; %bb.48:                               ;   in Loop: Header=BB13_9 Depth=1
	s_mov_b32 s0, s33
.LBB13_49:                              ;   in Loop: Header=BB13_9 Depth=1
	s_and_not1_b32 vcc_lo, exec_lo, s34
	s_cbranch_vccnz .LBB13_52
; %bb.50:                               ;   in Loop: Header=BB13_9 Depth=1
	s_lshl_b32 s1, s0, 2
	s_mul_i32 s2, s0, 12
	s_add_u32 s0, s24, s1
	s_addc_u32 s1, s25, 0
	s_add_u32 s2, s20, s2
	s_addc_u32 s3, s21, 0
	s_mov_b32 s39, s30
	.p2align	6
.LBB13_51:                              ;   Parent Loop BB13_9 Depth=1
                                        ; =>  This Inner Loop Header: Depth=2
	s_clause 0x1
	s_load_b64 s[40:41], s[2:3], 0x4
	s_load_b32 s42, s[2:3], 0xc
	s_add_u32 s2, s2, 12
	s_addc_u32 s3, s3, 0
	s_waitcnt lgkmcnt(0)
	v_mul_hi_u32 v0, s41, v15
	s_load_b32 s41, s[0:1], 0x0
	s_add_u32 s0, s0, 4
	s_addc_u32 s1, s1, 0
	s_add_i32 s39, s39, -1
	s_delay_alu instid0(SALU_CYCLE_1) | instskip(NEXT) | instid1(VALU_DEP_1)
	s_cmp_eq_u32 s39, 0
	v_add_nc_u32_e32 v0, v15, v0
	s_delay_alu instid0(VALU_DEP_1) | instskip(NEXT) | instid1(VALU_DEP_1)
	v_lshrrev_b32_e32 v0, s42, v0
	v_mul_lo_u32 v6, v0, s40
	s_delay_alu instid0(VALU_DEP_1) | instskip(SKIP_2) | instid1(VALU_DEP_2)
	v_sub_nc_u32_e32 v6, v15, v6
	v_mov_b32_e32 v15, v0
	s_waitcnt lgkmcnt(0)
	v_mad_u64_u32 v[40:41], null, v6, s41, v[5:6]
	s_delay_alu instid0(VALU_DEP_1)
	v_mov_b32_e32 v5, v40
	s_cbranch_scc0 .LBB13_51
.LBB13_52:                              ;   in Loop: Header=BB13_9 Depth=1
	v_lshrrev_b32_e32 v0, 11, v8
	v_cvt_f64_u32_e32 v[6:7], v7
	s_mov_b32 s1, exec_lo
	s_delay_alu instid0(VALU_DEP_2) | instskip(NEXT) | instid1(VALU_DEP_1)
	v_cvt_f64_u32_e32 v[8:9], v0
	v_ldexp_f64 v[8:9], v[8:9], 32
	s_delay_alu instid0(VALU_DEP_1) | instskip(NEXT) | instid1(VALU_DEP_1)
	v_add_f64 v[6:7], v[8:9], v[6:7]
                                        ; implicit-def: $vgpr8
	v_fma_f64 v[6:7], 0x3ca00000, v[6:7], 0x3ca00000
	s_delay_alu instid0(VALU_DEP_1) | instskip(NEXT) | instid1(VALU_DEP_1)
	v_cvt_f32_f64_e32 v0, v[6:7]
	v_cmp_nlt_f32_e32 vcc_lo, 0x3f7ffffe, v0
	v_cndmask_b32_e32 v0, 0x3f7ffffe, v0, vcc_lo
	s_delay_alu instid0(VALU_DEP_1) | instskip(SKIP_1) | instid1(VALU_DEP_1)
	v_cmp_ngt_f32_e32 vcc_lo, 0x34000000, v0
	v_cndmask_b32_e32 v0, 0x34000000, v0, vcc_lo
	v_add_f32_e32 v0, -0.5, v0
	s_delay_alu instid0(VALU_DEP_1) | instskip(NEXT) | instid1(VALU_DEP_1)
	v_mul_f32_e32 v6, 0x40490fdb, v0
                                        ; implicit-def: $vgpr0
	v_and_b32_e32 v7, 0x7fffffff, v6
	v_cmpx_ngt_f32_e64 0x48000000, |v6|
	s_xor_b32 s3, exec_lo, s1
	s_cbranch_execz .LBB13_54
; %bb.53:                               ;   in Loop: Header=BB13_9 Depth=1
	s_delay_alu instid0(VALU_DEP_2) | instskip(NEXT) | instid1(VALU_DEP_1)
	v_and_or_b32 v46, v7, s35, 0x800000
	v_mad_u64_u32 v[8:9], null, 0xfe5163ab, v46, 0
	s_delay_alu instid0(VALU_DEP_1) | instskip(SKIP_1) | instid1(VALU_DEP_1)
	v_mov_b32_e32 v0, v9
	v_lshrrev_b32_e32 v9, 23, v7
	v_add_nc_u32_e32 v9, 0xffffff88, v9
	s_delay_alu instid0(VALU_DEP_3) | instskip(NEXT) | instid1(VALU_DEP_2)
	v_mad_u64_u32 v[15:16], null, 0x3c439041, v46, v[0:1]
	v_cmp_lt_u32_e32 vcc_lo, 63, v9
	s_delay_alu instid0(VALU_DEP_2) | instskip(SKIP_1) | instid1(VALU_DEP_2)
	v_mov_b32_e32 v0, v16
	v_cndmask_b32_e64 v16, 0, 0xffffffc0, vcc_lo
	v_mad_u64_u32 v[40:41], null, 0xdb629599, v46, v[0:1]
	s_delay_alu instid0(VALU_DEP_2) | instskip(NEXT) | instid1(VALU_DEP_1)
	v_add_nc_u32_e32 v9, v16, v9
	v_cmp_lt_u32_e64 s0, 31, v9
	s_delay_alu instid0(VALU_DEP_3) | instskip(NEXT) | instid1(VALU_DEP_4)
	v_mov_b32_e32 v0, v41
	v_cndmask_b32_e32 v8, v40, v8, vcc_lo
	s_delay_alu instid0(VALU_DEP_3) | instskip(NEXT) | instid1(VALU_DEP_3)
	v_cndmask_b32_e64 v16, 0, 0xffffffe0, s0
	v_mad_u64_u32 v[41:42], null, 0xf534ddc0, v46, v[0:1]
	s_delay_alu instid0(VALU_DEP_1) | instskip(NEXT) | instid1(VALU_DEP_1)
	v_dual_mov_b32 v0, v42 :: v_dual_add_nc_u32 v9, v16, v9
	v_cmp_lt_u32_e64 s1, 31, v9
	s_delay_alu instid0(VALU_DEP_2) | instskip(NEXT) | instid1(VALU_DEP_1)
	v_mad_u64_u32 v[42:43], null, 0xfc2757d1, v46, v[0:1]
	v_mov_b32_e32 v0, v43
	s_delay_alu instid0(VALU_DEP_1) | instskip(NEXT) | instid1(VALU_DEP_1)
	v_mad_u64_u32 v[43:44], null, 0x4e441529, v46, v[0:1]
	v_mov_b32_e32 v0, v44
	s_delay_alu instid0(VALU_DEP_2) | instskip(NEXT) | instid1(VALU_DEP_2)
	v_cndmask_b32_e32 v16, v43, v41, vcc_lo
	v_mad_u64_u32 v[44:45], null, 0xa2f9836e, v46, v[0:1]
	v_cndmask_b32_e64 v0, 0, 0xffffffe0, s1
	s_delay_alu instid0(VALU_DEP_1) | instskip(NEXT) | instid1(VALU_DEP_3)
	v_add_nc_u32_e32 v0, v0, v9
	v_dual_cndmask_b32 v44, v44, v42 :: v_dual_cndmask_b32 v43, v45, v43
	v_dual_cndmask_b32 v42, v42, v40 :: v_dual_cndmask_b32 v9, v41, v15
	s_delay_alu instid0(VALU_DEP_3) | instskip(NEXT) | instid1(VALU_DEP_3)
	v_cmp_eq_u32_e64 s2, 0, v0
	v_cndmask_b32_e64 v15, v44, v16, s0
	s_delay_alu instid0(VALU_DEP_4) | instskip(NEXT) | instid1(VALU_DEP_4)
	v_cndmask_b32_e64 v41, v43, v44, s0
	v_cndmask_b32_e64 v16, v16, v42, s0
	v_sub_nc_u32_e32 v43, 32, v0
	v_cndmask_b32_e64 v42, v42, v9, s0
	v_cndmask_b32_e64 v8, v9, v8, s0
	;; [unrolled: 1-line block ×4, first 2 shown]
	s_delay_alu instid0(VALU_DEP_4) | instskip(NEXT) | instid1(VALU_DEP_4)
	v_cndmask_b32_e64 v16, v16, v42, s1
	v_cndmask_b32_e64 v8, v42, v8, s1
	s_delay_alu instid0(VALU_DEP_3) | instskip(NEXT) | instid1(VALU_DEP_3)
	v_alignbit_b32 v44, v41, v15, v43
	v_alignbit_b32 v45, v15, v16, v43
	s_delay_alu instid0(VALU_DEP_3) | instskip(NEXT) | instid1(VALU_DEP_3)
	v_alignbit_b32 v43, v16, v8, v43
	v_cndmask_b32_e64 v0, v44, v41, s2
	s_delay_alu instid0(VALU_DEP_3) | instskip(NEXT) | instid1(VALU_DEP_3)
	v_cndmask_b32_e64 v15, v45, v15, s2
	v_cndmask_b32_e64 v16, v43, v16, s2
	s_delay_alu instid0(VALU_DEP_3) | instskip(NEXT) | instid1(VALU_DEP_3)
	v_bfe_u32 v40, v0, 29, 1
	v_alignbit_b32 v9, v0, v15, 30
	s_delay_alu instid0(VALU_DEP_3) | instskip(SKIP_1) | instid1(VALU_DEP_4)
	v_alignbit_b32 v15, v15, v16, 30
	v_alignbit_b32 v8, v16, v8, 30
	v_sub_nc_u32_e32 v41, 0, v40
	s_delay_alu instid0(VALU_DEP_1) | instskip(SKIP_3) | instid1(VALU_DEP_4)
	v_xor_b32_e32 v42, v9, v41
	v_cmp_ne_u32_e32 vcc_lo, v9, v41
	v_xor_b32_e32 v15, v15, v41
	v_xor_b32_e32 v8, v8, v41
	v_clz_i32_u32_e32 v44, v42
	s_delay_alu instid0(VALU_DEP_1) | instskip(NEXT) | instid1(VALU_DEP_1)
	v_add_nc_u32_e32 v43, 1, v44
	v_cndmask_b32_e32 v9, 33, v43, vcc_lo
	s_delay_alu instid0(VALU_DEP_1) | instskip(NEXT) | instid1(VALU_DEP_1)
	v_sub_nc_u32_e32 v16, 32, v9
	v_alignbit_b32 v41, v42, v15, v16
	v_alignbit_b32 v8, v15, v8, v16
	v_lshrrev_b32_e32 v15, 29, v0
	s_delay_alu instid0(VALU_DEP_2) | instskip(NEXT) | instid1(VALU_DEP_2)
	v_alignbit_b32 v16, v41, v8, 9
	v_lshlrev_b32_e32 v15, 31, v15
	v_alignbit_b32 v41, v9, v41, 9
	s_delay_alu instid0(VALU_DEP_3) | instskip(NEXT) | instid1(VALU_DEP_2)
	v_clz_i32_u32_e32 v42, v16
	v_or_b32_e32 v41, v41, v15
	v_or_b32_e32 v15, 0x33800000, v15
	s_delay_alu instid0(VALU_DEP_3) | instskip(NEXT) | instid1(VALU_DEP_3)
	v_min_u32_e32 v42, 32, v42
	v_xor_b32_e32 v41, 1.0, v41
	s_delay_alu instid0(VALU_DEP_2) | instskip(SKIP_1) | instid1(VALU_DEP_3)
	v_sub_nc_u32_e32 v43, 31, v42
	v_add_lshl_u32 v9, v42, v9, 23
	v_mul_f32_e32 v42, 0x3fc90fda, v41
	s_delay_alu instid0(VALU_DEP_3) | instskip(NEXT) | instid1(VALU_DEP_3)
	v_alignbit_b32 v8, v16, v8, v43
	v_sub_nc_u32_e32 v9, v15, v9
	s_delay_alu instid0(VALU_DEP_3) | instskip(NEXT) | instid1(VALU_DEP_3)
	v_fma_f32 v15, 0x3fc90fda, v41, -v42
	v_lshrrev_b32_e32 v8, 9, v8
	s_delay_alu instid0(VALU_DEP_2) | instskip(NEXT) | instid1(VALU_DEP_2)
	v_fmac_f32_e32 v15, 0x33a22168, v41
	v_or_b32_e32 v8, v9, v8
	s_delay_alu instid0(VALU_DEP_1) | instskip(SKIP_1) | instid1(VALU_DEP_2)
	v_fmac_f32_e32 v15, 0x3fc90fda, v8
	v_lshrrev_b32_e32 v8, 30, v0
	v_add_f32_e32 v0, v42, v15
	s_delay_alu instid0(VALU_DEP_2)
	v_add_nc_u32_e32 v8, v40, v8
.LBB13_54:                              ;   in Loop: Header=BB13_9 Depth=1
	s_and_not1_saveexec_b32 s0, s3
	s_cbranch_execz .LBB13_7
; %bb.55:                               ;   in Loop: Header=BB13_9 Depth=1
	v_mul_f32_e64 v0, 0x3f22f983, |v6|
	s_delay_alu instid0(VALU_DEP_1) | instskip(NEXT) | instid1(VALU_DEP_1)
	v_rndne_f32_e32 v8, v0
	v_fma_f32 v0, 0xbfc90fda, v8, |v6|
	s_delay_alu instid0(VALU_DEP_1) | instskip(NEXT) | instid1(VALU_DEP_1)
	v_fmac_f32_e32 v0, 0xb3a22168, v8
	v_fmac_f32_e32 v0, 0xa7c234c4, v8
	v_cvt_i32_f32_e32 v8, v8
	s_branch .LBB13_7
.LBB13_56:
	s_endpgm
.LBB13_57:
                                        ; implicit-def: $sgpr2_sgpr3
	s_branch .LBB13_4
	.section	.rodata,"a",@progbits
	.p2align	6, 0x0
	.amdhsa_kernel _ZN2at6native12_GLOBAL__N_143distribution_elementwise_grid_stride_kernelIfLi4EZNS0_9templates4cuda21uniform_and_transformIN3c108BFloat16EfPNS_17CUDAGeneratorImplEZZZNS4_13cauchy_kernelIS9_EEvRNS_18TensorIteratorBaseEddT_ENKUlvE_clEvENKUlvE2_clEvEUlfE_EEvSC_T1_T2_EUlP25hiprandStatePhilox4_32_10E_ZNS1_27distribution_nullary_kernelIS7_f15HIP_vector_typeIdLj2EES9_SL_SG_EEvSC_SI_RKT3_T4_EUlifE0_EEvlNS_15PhiloxCudaStateESH_SI_
		.amdhsa_group_segment_fixed_size 0
		.amdhsa_private_segment_fixed_size 0
		.amdhsa_kernarg_size 584
		.amdhsa_user_sgpr_count 15
		.amdhsa_user_sgpr_dispatch_ptr 0
		.amdhsa_user_sgpr_queue_ptr 0
		.amdhsa_user_sgpr_kernarg_segment_ptr 1
		.amdhsa_user_sgpr_dispatch_id 0
		.amdhsa_user_sgpr_private_segment_size 0
		.amdhsa_wavefront_size32 1
		.amdhsa_uses_dynamic_stack 0
		.amdhsa_enable_private_segment 0
		.amdhsa_system_sgpr_workgroup_id_x 1
		.amdhsa_system_sgpr_workgroup_id_y 0
		.amdhsa_system_sgpr_workgroup_id_z 0
		.amdhsa_system_sgpr_workgroup_info 0
		.amdhsa_system_vgpr_workitem_id 0
		.amdhsa_next_free_vgpr 48
		.amdhsa_next_free_sgpr 56
		.amdhsa_reserve_vcc 1
		.amdhsa_float_round_mode_32 0
		.amdhsa_float_round_mode_16_64 0
		.amdhsa_float_denorm_mode_32 3
		.amdhsa_float_denorm_mode_16_64 3
		.amdhsa_dx10_clamp 1
		.amdhsa_ieee_mode 1
		.amdhsa_fp16_overflow 0
		.amdhsa_workgroup_processor_mode 1
		.amdhsa_memory_ordered 1
		.amdhsa_forward_progress 0
		.amdhsa_shared_vgpr_count 0
		.amdhsa_exception_fp_ieee_invalid_op 0
		.amdhsa_exception_fp_denorm_src 0
		.amdhsa_exception_fp_ieee_div_zero 0
		.amdhsa_exception_fp_ieee_overflow 0
		.amdhsa_exception_fp_ieee_underflow 0
		.amdhsa_exception_fp_ieee_inexact 0
		.amdhsa_exception_int_div_zero 0
	.end_amdhsa_kernel
	.section	.text._ZN2at6native12_GLOBAL__N_143distribution_elementwise_grid_stride_kernelIfLi4EZNS0_9templates4cuda21uniform_and_transformIN3c108BFloat16EfPNS_17CUDAGeneratorImplEZZZNS4_13cauchy_kernelIS9_EEvRNS_18TensorIteratorBaseEddT_ENKUlvE_clEvENKUlvE2_clEvEUlfE_EEvSC_T1_T2_EUlP25hiprandStatePhilox4_32_10E_ZNS1_27distribution_nullary_kernelIS7_f15HIP_vector_typeIdLj2EES9_SL_SG_EEvSC_SI_RKT3_T4_EUlifE0_EEvlNS_15PhiloxCudaStateESH_SI_,"axG",@progbits,_ZN2at6native12_GLOBAL__N_143distribution_elementwise_grid_stride_kernelIfLi4EZNS0_9templates4cuda21uniform_and_transformIN3c108BFloat16EfPNS_17CUDAGeneratorImplEZZZNS4_13cauchy_kernelIS9_EEvRNS_18TensorIteratorBaseEddT_ENKUlvE_clEvENKUlvE2_clEvEUlfE_EEvSC_T1_T2_EUlP25hiprandStatePhilox4_32_10E_ZNS1_27distribution_nullary_kernelIS7_f15HIP_vector_typeIdLj2EES9_SL_SG_EEvSC_SI_RKT3_T4_EUlifE0_EEvlNS_15PhiloxCudaStateESH_SI_,comdat
.Lfunc_end13:
	.size	_ZN2at6native12_GLOBAL__N_143distribution_elementwise_grid_stride_kernelIfLi4EZNS0_9templates4cuda21uniform_and_transformIN3c108BFloat16EfPNS_17CUDAGeneratorImplEZZZNS4_13cauchy_kernelIS9_EEvRNS_18TensorIteratorBaseEddT_ENKUlvE_clEvENKUlvE2_clEvEUlfE_EEvSC_T1_T2_EUlP25hiprandStatePhilox4_32_10E_ZNS1_27distribution_nullary_kernelIS7_f15HIP_vector_typeIdLj2EES9_SL_SG_EEvSC_SI_RKT3_T4_EUlifE0_EEvlNS_15PhiloxCudaStateESH_SI_, .Lfunc_end13-_ZN2at6native12_GLOBAL__N_143distribution_elementwise_grid_stride_kernelIfLi4EZNS0_9templates4cuda21uniform_and_transformIN3c108BFloat16EfPNS_17CUDAGeneratorImplEZZZNS4_13cauchy_kernelIS9_EEvRNS_18TensorIteratorBaseEddT_ENKUlvE_clEvENKUlvE2_clEvEUlfE_EEvSC_T1_T2_EUlP25hiprandStatePhilox4_32_10E_ZNS1_27distribution_nullary_kernelIS7_f15HIP_vector_typeIdLj2EES9_SL_SG_EEvSC_SI_RKT3_T4_EUlifE0_EEvlNS_15PhiloxCudaStateESH_SI_
                                        ; -- End function
	.section	.AMDGPU.csdata,"",@progbits
; Kernel info:
; codeLenInByte = 6080
; NumSgprs: 58
; NumVgprs: 48
; ScratchSize: 0
; MemoryBound: 0
; FloatMode: 240
; IeeeMode: 1
; LDSByteSize: 0 bytes/workgroup (compile time only)
; SGPRBlocks: 7
; VGPRBlocks: 5
; NumSGPRsForWavesPerEU: 58
; NumVGPRsForWavesPerEU: 48
; Occupancy: 16
; WaveLimiterHint : 1
; COMPUTE_PGM_RSRC2:SCRATCH_EN: 0
; COMPUTE_PGM_RSRC2:USER_SGPR: 15
; COMPUTE_PGM_RSRC2:TRAP_HANDLER: 0
; COMPUTE_PGM_RSRC2:TGID_X_EN: 1
; COMPUTE_PGM_RSRC2:TGID_Y_EN: 0
; COMPUTE_PGM_RSRC2:TGID_Z_EN: 0
; COMPUTE_PGM_RSRC2:TIDIG_COMP_CNT: 0
	.section	.text._ZN2at6native12_GLOBAL__N_143distribution_elementwise_grid_stride_kernelIfLi4EZNS0_9templates4cuda21uniform_and_transformIN3c108BFloat16EfPNS_17CUDAGeneratorImplEZZZNS4_13cauchy_kernelIS9_EEvRNS_18TensorIteratorBaseEddT_ENKUlvE_clEvENKUlvE2_clEvEUlfE_EEvSC_T1_T2_EUlP25hiprandStatePhilox4_32_10E0_ZNS1_27distribution_nullary_kernelIS7_f15HIP_vector_typeIfLj4EES9_SL_SG_EEvSC_SI_RKT3_T4_EUlifE_EEvlNS_15PhiloxCudaStateESH_SI_,"axG",@progbits,_ZN2at6native12_GLOBAL__N_143distribution_elementwise_grid_stride_kernelIfLi4EZNS0_9templates4cuda21uniform_and_transformIN3c108BFloat16EfPNS_17CUDAGeneratorImplEZZZNS4_13cauchy_kernelIS9_EEvRNS_18TensorIteratorBaseEddT_ENKUlvE_clEvENKUlvE2_clEvEUlfE_EEvSC_T1_T2_EUlP25hiprandStatePhilox4_32_10E0_ZNS1_27distribution_nullary_kernelIS7_f15HIP_vector_typeIfLj4EES9_SL_SG_EEvSC_SI_RKT3_T4_EUlifE_EEvlNS_15PhiloxCudaStateESH_SI_,comdat
	.globl	_ZN2at6native12_GLOBAL__N_143distribution_elementwise_grid_stride_kernelIfLi4EZNS0_9templates4cuda21uniform_and_transformIN3c108BFloat16EfPNS_17CUDAGeneratorImplEZZZNS4_13cauchy_kernelIS9_EEvRNS_18TensorIteratorBaseEddT_ENKUlvE_clEvENKUlvE2_clEvEUlfE_EEvSC_T1_T2_EUlP25hiprandStatePhilox4_32_10E0_ZNS1_27distribution_nullary_kernelIS7_f15HIP_vector_typeIfLj4EES9_SL_SG_EEvSC_SI_RKT3_T4_EUlifE_EEvlNS_15PhiloxCudaStateESH_SI_ ; -- Begin function _ZN2at6native12_GLOBAL__N_143distribution_elementwise_grid_stride_kernelIfLi4EZNS0_9templates4cuda21uniform_and_transformIN3c108BFloat16EfPNS_17CUDAGeneratorImplEZZZNS4_13cauchy_kernelIS9_EEvRNS_18TensorIteratorBaseEddT_ENKUlvE_clEvENKUlvE2_clEvEUlfE_EEvSC_T1_T2_EUlP25hiprandStatePhilox4_32_10E0_ZNS1_27distribution_nullary_kernelIS7_f15HIP_vector_typeIfLj4EES9_SL_SG_EEvSC_SI_RKT3_T4_EUlifE_EEvlNS_15PhiloxCudaStateESH_SI_
	.p2align	8
	.type	_ZN2at6native12_GLOBAL__N_143distribution_elementwise_grid_stride_kernelIfLi4EZNS0_9templates4cuda21uniform_and_transformIN3c108BFloat16EfPNS_17CUDAGeneratorImplEZZZNS4_13cauchy_kernelIS9_EEvRNS_18TensorIteratorBaseEddT_ENKUlvE_clEvENKUlvE2_clEvEUlfE_EEvSC_T1_T2_EUlP25hiprandStatePhilox4_32_10E0_ZNS1_27distribution_nullary_kernelIS7_f15HIP_vector_typeIfLj4EES9_SL_SG_EEvSC_SI_RKT3_T4_EUlifE_EEvlNS_15PhiloxCudaStateESH_SI_,@function
_ZN2at6native12_GLOBAL__N_143distribution_elementwise_grid_stride_kernelIfLi4EZNS0_9templates4cuda21uniform_and_transformIN3c108BFloat16EfPNS_17CUDAGeneratorImplEZZZNS4_13cauchy_kernelIS9_EEvRNS_18TensorIteratorBaseEddT_ENKUlvE_clEvENKUlvE2_clEvEUlfE_EEvSC_T1_T2_EUlP25hiprandStatePhilox4_32_10E0_ZNS1_27distribution_nullary_kernelIS7_f15HIP_vector_typeIfLj4EES9_SL_SG_EEvSC_SI_RKT3_T4_EUlifE_EEvlNS_15PhiloxCudaStateESH_SI_: ; @_ZN2at6native12_GLOBAL__N_143distribution_elementwise_grid_stride_kernelIfLi4EZNS0_9templates4cuda21uniform_and_transformIN3c108BFloat16EfPNS_17CUDAGeneratorImplEZZZNS4_13cauchy_kernelIS9_EEvRNS_18TensorIteratorBaseEddT_ENKUlvE_clEvENKUlvE2_clEvEUlfE_EEvSC_T1_T2_EUlP25hiprandStatePhilox4_32_10E0_ZNS1_27distribution_nullary_kernelIS7_f15HIP_vector_typeIfLj4EES9_SL_SG_EEvSC_SI_RKT3_T4_EUlifE_EEvlNS_15PhiloxCudaStateESH_SI_
; %bb.0:
	s_clause 0x2
	s_load_b64 s[8:9], s[0:1], 0x10
	s_load_b128 s[4:7], s[0:1], 0x0
	s_load_b32 s2, s[0:1], 0x20
	s_waitcnt lgkmcnt(0)
	v_dual_mov_b32 v2, s8 :: v_dual_mov_b32 v3, s9
	v_dual_mov_b32 v11, s7 :: v_dual_mov_b32 v10, s6
	s_bitcmp0_b32 s2, 0
	s_mov_b32 s2, 0
	s_cbranch_scc1 .LBB14_2
; %bb.1:
	v_dual_mov_b32 v1, s8 :: v_dual_mov_b32 v2, s9
	v_dual_mov_b32 v4, s6 :: v_dual_mov_b32 v5, s7
	s_load_b64 s[6:7], s[0:1], 0x18
	flat_load_b64 v[2:3], v[1:2]
	flat_load_b64 v[10:11], v[4:5]
	s_waitcnt vmcnt(1) lgkmcnt(0)
	v_add_co_u32 v2, vcc_lo, v2, s6
	v_add_co_ci_u32_e32 v3, vcc_lo, s7, v3, vcc_lo
.LBB14_2:
	s_clause 0x1
	s_load_b32 s3, s[0:1], 0x54
	s_load_b32 s20, s[0:1], 0x48
	s_waitcnt lgkmcnt(0)
	s_and_b32 s19, s3, 0xffff
	s_add_u32 s6, s4, -1
	s_mul_i32 s14, s20, s19
	s_addc_u32 s3, s5, -1
	s_lshl_b32 s16, s14, 2
	s_cmp_lg_u64 s[2:3], 0
	s_cbranch_scc0 .LBB14_43
; %bb.3:
	v_cvt_f32_ubyte0_e32 v1, 0
	v_cvt_f32_u32_e32 v4, s16
	s_sub_u32 s8, 0, s16
	s_subb_u32 s9, 0, 0
	s_delay_alu instid0(VALU_DEP_1) | instskip(NEXT) | instid1(VALU_DEP_1)
	v_fmamk_f32 v1, v1, 0x4f800000, v4
	v_rcp_f32_e32 v1, v1
	s_waitcnt_depctr 0xfff
	v_mul_f32_e32 v1, 0x5f7ffffc, v1
	s_delay_alu instid0(VALU_DEP_1) | instskip(NEXT) | instid1(VALU_DEP_1)
	v_mul_f32_e32 v4, 0x2f800000, v1
	v_trunc_f32_e32 v4, v4
	s_delay_alu instid0(VALU_DEP_1) | instskip(SKIP_1) | instid1(VALU_DEP_2)
	v_fmamk_f32 v1, v4, 0xcf800000, v1
	v_cvt_u32_f32_e32 v4, v4
	v_cvt_u32_f32_e32 v1, v1
	s_delay_alu instid0(VALU_DEP_2) | instskip(NEXT) | instid1(VALU_DEP_2)
	v_readfirstlane_b32 s2, v4
	v_readfirstlane_b32 s7, v1
	s_delay_alu instid0(VALU_DEP_2) | instskip(NEXT) | instid1(VALU_DEP_1)
	s_mul_i32 s10, s8, s2
	s_mul_hi_u32 s12, s8, s7
	s_mul_i32 s11, s9, s7
	s_add_i32 s10, s12, s10
	s_mul_i32 s13, s8, s7
	s_add_i32 s10, s10, s11
	s_mul_hi_u32 s12, s7, s13
	s_mul_hi_u32 s17, s2, s13
	s_mul_i32 s11, s2, s13
	s_mul_hi_u32 s13, s7, s10
	s_mul_i32 s7, s7, s10
	s_mul_hi_u32 s18, s2, s10
	s_add_u32 s7, s12, s7
	s_addc_u32 s12, 0, s13
	s_add_u32 s7, s7, s11
	s_mul_i32 s10, s2, s10
	s_addc_u32 s7, s12, s17
	s_addc_u32 s11, s18, 0
	s_add_u32 s7, s7, s10
	s_addc_u32 s10, 0, s11
	v_add_co_u32 v1, s7, v1, s7
	s_delay_alu instid0(VALU_DEP_1) | instskip(SKIP_1) | instid1(VALU_DEP_1)
	s_cmp_lg_u32 s7, 0
	s_addc_u32 s2, s2, s10
	v_readfirstlane_b32 s7, v1
	s_mul_i32 s10, s8, s2
	s_delay_alu instid0(VALU_DEP_1)
	s_mul_hi_u32 s11, s8, s7
	s_mul_i32 s9, s9, s7
	s_add_i32 s10, s11, s10
	s_mul_i32 s8, s8, s7
	s_add_i32 s10, s10, s9
	s_mul_hi_u32 s11, s2, s8
	s_mul_i32 s12, s2, s8
	s_mul_hi_u32 s8, s7, s8
	s_mul_hi_u32 s13, s7, s10
	s_mul_i32 s7, s7, s10
	s_mul_hi_u32 s9, s2, s10
	s_add_u32 s7, s8, s7
	s_addc_u32 s8, 0, s13
	s_add_u32 s7, s7, s12
	s_mul_i32 s10, s2, s10
	s_addc_u32 s7, s8, s11
	s_addc_u32 s8, s9, 0
	s_add_u32 s7, s7, s10
	s_addc_u32 s8, 0, s8
	v_add_co_u32 v1, s7, v1, s7
	s_delay_alu instid0(VALU_DEP_1) | instskip(SKIP_2) | instid1(VALU_DEP_1)
	s_cmp_lg_u32 s7, 0
	s_addc_u32 s7, s2, s8
	s_ashr_i32 s8, s3, 31
	v_readfirstlane_b32 s10, v1
	s_add_u32 s2, s6, s8
	s_mov_b32 s9, s8
	s_addc_u32 s3, s3, s8
	s_delay_alu instid0(SALU_CYCLE_1) | instskip(NEXT) | instid1(SALU_CYCLE_1)
	s_xor_b64 s[2:3], s[2:3], s[8:9]
	s_mul_i32 s12, s2, s7
	s_mul_hi_u32 s13, s2, s10
	s_mul_hi_u32 s11, s2, s7
	;; [unrolled: 1-line block ×3, first 2 shown]
	s_mul_i32 s10, s3, s10
	s_add_u32 s12, s13, s12
	s_addc_u32 s11, 0, s11
	s_mul_hi_u32 s17, s3, s7
	s_add_u32 s10, s12, s10
	s_mul_i32 s7, s3, s7
	s_addc_u32 s10, s11, s18
	s_addc_u32 s11, s17, 0
	s_add_u32 s7, s10, s7
	s_addc_u32 s10, 0, s11
	s_mul_i32 s12, s16, s7
	s_add_u32 s11, s7, 1
	v_sub_co_u32 v1, s2, s2, s12
	s_mul_hi_u32 s12, s16, s7
	s_addc_u32 s13, s10, 0
	s_mul_i32 s17, s16, s10
	s_delay_alu instid0(VALU_DEP_1)
	v_sub_co_u32 v4, s18, v1, s16
	s_add_u32 s21, s7, 2
	s_addc_u32 s22, s10, 0
	s_add_i32 s12, s12, s17
	s_cmp_lg_u32 s2, 0
	v_readfirstlane_b32 s2, v4
	s_subb_u32 s3, s3, s12
	s_cmp_lg_u32 s18, 0
	s_subb_u32 s12, s3, 0
	s_delay_alu instid0(VALU_DEP_1) | instskip(SKIP_4) | instid1(SALU_CYCLE_1)
	s_cmp_ge_u32 s2, s16
	s_cselect_b32 s2, -1, 0
	s_cmp_eq_u32 s12, 0
	v_readfirstlane_b32 s12, v1
	s_cselect_b32 s2, s2, -1
	s_cmp_lg_u32 s2, 0
	s_cselect_b32 s2, s21, s11
	s_cselect_b32 s11, s22, s13
	s_cmp_ge_u32 s12, s16
	s_cselect_b32 s12, -1, 0
	s_cmp_eq_u32 s3, 0
	s_cselect_b32 s3, s12, -1
	s_delay_alu instid0(SALU_CYCLE_1) | instskip(SKIP_2) | instid1(SALU_CYCLE_1)
	s_cmp_lg_u32 s3, 0
	s_cselect_b32 s3, s11, s10
	s_cselect_b32 s2, s2, s7
	s_xor_b64 s[2:3], s[2:3], s[8:9]
	s_delay_alu instid0(SALU_CYCLE_1)
	s_sub_u32 s2, s2, s8
	s_subb_u32 s3, s3, s8
	s_cbranch_execnz .LBB14_5
.LBB14_4:
	v_cvt_f32_u32_e32 v1, s16
	s_sub_i32 s3, 0, s16
	s_delay_alu instid0(VALU_DEP_1) | instskip(SKIP_2) | instid1(VALU_DEP_1)
	v_rcp_iflag_f32_e32 v1, v1
	s_waitcnt_depctr 0xfff
	v_mul_f32_e32 v1, 0x4f7ffffe, v1
	v_cvt_u32_f32_e32 v1, v1
	s_delay_alu instid0(VALU_DEP_1) | instskip(NEXT) | instid1(VALU_DEP_1)
	v_readfirstlane_b32 s2, v1
	s_mul_i32 s3, s3, s2
	s_delay_alu instid0(SALU_CYCLE_1) | instskip(NEXT) | instid1(SALU_CYCLE_1)
	s_mul_hi_u32 s3, s2, s3
	s_add_i32 s2, s2, s3
	s_delay_alu instid0(SALU_CYCLE_1) | instskip(NEXT) | instid1(SALU_CYCLE_1)
	s_mul_hi_u32 s2, s6, s2
	s_mul_i32 s3, s2, s16
	s_delay_alu instid0(SALU_CYCLE_1)
	s_sub_i32 s3, s6, s3
	s_add_i32 s6, s2, 1
	s_sub_i32 s7, s3, s16
	s_cmp_ge_u32 s3, s16
	s_cselect_b32 s2, s6, s2
	s_cselect_b32 s3, s7, s3
	s_add_i32 s6, s2, 1
	s_cmp_ge_u32 s3, s16
	s_mov_b32 s3, 0
	s_cselect_b32 s2, s6, s2
.LBB14_5:
	v_mov_b32_e32 v1, 0
	s_add_u32 s2, s2, 1
	s_addc_u32 s3, s3, 0
	s_mul_hi_u32 s6, s14, s2
	s_mul_i32 s3, s14, s3
	v_mad_u64_u32 v[12:13], null, s19, s15, v[0:1]
	s_mul_hi_u32 s7, s20, s19
	s_add_i32 s3, s6, s3
	s_mul_i32 s7, s7, s2
	s_mul_i32 s2, s14, s2
	s_add_i32 s3, s3, s7
	s_delay_alu instid0(SALU_CYCLE_1)
	s_lshl_b64 s[6:7], s[2:3], 2
	s_mov_b32 s2, exec_lo
	v_cmpx_gt_i64_e64 s[6:7], v[12:13]
	s_cbranch_execz .LBB14_42
; %bb.6:
	v_alignbit_b32 v16, v3, v2, 2
	v_mad_u64_u32 v[4:5], null, 0xcd9e8d57, v12, 0
	v_lshrrev_b32_e32 v17, 2, v3
	s_waitcnt vmcnt(0)
	v_dual_mov_b32 v37, v11 :: v_dual_add_nc_u32 v28, 0x96a522ad, v11
	v_mad_u64_u32 v[6:7], null, 0xd2511f53, v16, 0
	v_add_co_u32 v19, null, 0x9e3779b9, v10
	v_xor3_b32 v3, v10, v5, v17
	s_delay_alu instid0(VALU_DEP_4) | instskip(SKIP_2) | instid1(VALU_DEP_4)
	v_add_co_u32 v18, null, 0xbb67ae85, v37
	v_add_co_u32 v20, null, 0x3c6ef372, v10
	v_xor_b32_e32 v5, v7, v11
	v_mad_u64_u32 v[7:8], null, 0xd2511f53, v3, 0
	v_add_co_u32 v21, null, 0x76cf5d0a, v37
	s_delay_alu instid0(VALU_DEP_3) | instskip(SKIP_2) | instid1(VALU_DEP_3)
	v_xor_b32_e32 v3, v5, v13
	v_add_co_u32 v22, null, 0x32370b8f, v37
	v_add_co_u32 v23, null, 0xdaa66d2b, v10
	v_mad_u64_u32 v[14:15], null, 0xcd9e8d57, v3, 0
	v_xor3_b32 v3, v18, v8, v6
	v_add_co_u32 v24, null, 0x78dde6e4, v10
	v_dual_mov_b32 v36, v12 :: v_dual_and_b32 v25, 3, v2
	s_delay_alu instid0(VALU_DEP_3) | instskip(SKIP_3) | instid1(VALU_DEP_3)
	v_mad_u64_u32 v[5:6], null, 0xcd9e8d57, v3, 0
	v_xor3_b32 v8, v19, v15, v4
	v_add_co_u32 v26, null, 0xed9eba14, v37
	v_add_co_u32 v29, null, 0xa9066899, v37
	v_mad_u64_u32 v[3:4], null, 0xd2511f53, v8, 0
	v_xor3_b32 v6, v20, v6, v14
	v_add_co_u32 v31, null, 0x1715609d, v10
	v_add_co_u32 v32, null, 0xb54cda56, v10
	s_delay_alu instid0(VALU_DEP_3) | instskip(SKIP_3) | instid1(VALU_DEP_3)
	v_mad_u64_u32 v[8:9], null, 0xd2511f53, v6, 0
	v_xor3_b32 v4, v21, v4, v7
	v_add_co_u32 v34, null, 0x646e171e, v37
	v_add_co_u32 v30, null, 0x5384540f, v10
	v_mad_u64_u32 v[6:7], null, 0xcd9e8d57, v4, 0
	v_xor3_b32 v9, v22, v9, v3
	v_add_co_u32 v35, null, 0x1fd5c5a3, v37
	s_clause 0x1
	s_load_b128 s[8:11], s[0:1], 0x38
	s_load_b64 s[12:13], s[0:1], 0x30
	v_add_co_u32 v33, null, 0xf1bbcdc8, v10
	v_mad_u64_u32 v[3:4], null, 0xcd9e8d57, v9, 0
	v_xor3_b32 v5, v23, v7, v5
	s_mul_i32 s0, s20, 3
	v_add_co_u32 v37, null, 0xdb3d7428, v37
	s_lshl_b32 s1, s20, 1
	s_delay_alu instid0(VALU_DEP_2) | instskip(NEXT) | instid1(VALU_DEP_4)
	v_mad_u64_u32 v[14:15], null, 0xd2511f53, v5, 0
	v_xor3_b32 v2, v24, v4, v6
	s_add_i32 s0, s15, s0
	s_add_i32 s2, s15, s20
	v_mad_u64_u32 v[39:40], null, s0, s19, v[0:1]
	s_delay_alu instid0(VALU_DEP_2) | instskip(NEXT) | instid1(VALU_DEP_4)
	v_mad_u64_u32 v[4:5], null, 0xd2511f53, v2, 0
	v_xor3_b32 v2, v26, v15, v8
	s_waitcnt lgkmcnt(0)
	s_mul_i32 s0, s20, s8
	s_mov_b32 s3, 0
	s_mul_i32 s0, s0, s19
	s_delay_alu instid0(VALU_DEP_3)
	v_mul_lo_u32 v39, s8, v39
	v_mad_u64_u32 v[6:7], null, 0xcd9e8d57, v2, 0
	v_xor3_b32 v2, v29, v5, v14
	s_lshl_b32 s11, s14, 1
	s_mul_i32 s17, s14, 3
	s_mov_b32 s18, 0x7fffff
	s_mov_b32 s20, 0
	v_mad_u64_u32 v[8:9], null, 0xcd9e8d57, v2, 0
	s_delay_alu instid0(VALU_DEP_3) | instskip(NEXT) | instid1(VALU_DEP_1)
	v_xor3_b32 v5, v31, v7, v3
	v_mad_u64_u32 v[2:3], null, 0xd2511f53, v5, 0
	s_delay_alu instid0(VALU_DEP_3) | instskip(SKIP_2) | instid1(SALU_CYCLE_1)
	v_xor3_b32 v7, v32, v9, v6
	v_mad_u64_u32 v[5:6], null, s15, s19, v[0:1]
	s_add_i32 s15, s15, s1
	v_mad_u64_u32 v[40:41], null, s15, s19, v[0:1]
	s_delay_alu instid0(VALU_DEP_4) | instskip(SKIP_1) | instid1(VALU_DEP_4)
	v_xor3_b32 v9, v34, v3, v4
	v_mad_u64_u32 v[3:4], null, 0xd2511f53, v7, 0
	v_mul_lo_u32 v38, s8, v5
	s_mov_b32 s15, 0xbc8cedd3
	s_delay_alu instid0(VALU_DEP_3) | instskip(SKIP_1) | instid1(VALU_DEP_4)
	v_mad_u64_u32 v[6:7], null, 0xcd9e8d57, v9, 0
	v_mul_lo_u32 v40, s8, v40
	v_xor3_b32 v2, v35, v4, v2
	s_delay_alu instid0(VALU_DEP_3) | instskip(NEXT) | instid1(VALU_DEP_2)
	v_xor3_b32 v4, v30, v7, v8
	v_mad_u64_u32 v[14:15], null, 0xcd9e8d57, v2, 0
	v_mad_u64_u32 v[8:9], null, s2, s19, v[0:1]
	s_delay_alu instid0(VALU_DEP_3) | instskip(SKIP_1) | instid1(VALU_DEP_3)
	v_mad_u64_u32 v[42:43], null, 0xd2511f53, v4, 0
	s_mov_b32 s19, 0x3c971480
	v_xor3_b32 v4, v33, v15, v6
	s_delay_alu instid0(VALU_DEP_3) | instskip(SKIP_1) | instid1(VALU_DEP_3)
	v_mul_lo_u32 v41, s8, v8
	s_lshl_b32 s8, s0, 2
	v_xor3_b32 v0, v37, v43, v3
	s_delay_alu instid0(VALU_DEP_3) | instskip(SKIP_1) | instid1(VALU_DEP_3)
	v_mad_u64_u32 v[2:3], null, 0xd2511f53, v4, 0
	v_add_nc_u32_e32 v27, 0x8ff34781, v10
	v_mad_u64_u32 v[6:7], null, 0xcd9e8d57, v0, 0
	s_delay_alu instid0(VALU_DEP_3) | instskip(NEXT) | instid1(VALU_DEP_2)
	v_mov_b32_e32 v8, v2
	v_xor3_b32 v5, v7, v14, v27
	v_xor3_b32 v7, v3, v42, v28
	v_mov_b32_e32 v42, v13
	s_branch .LBB14_9
.LBB14_7:                               ;   in Loop: Header=BB14_9 Depth=1
	s_or_b32 exec_lo, exec_lo, s0
	s_delay_alu instid0(VALU_DEP_1) | instskip(NEXT) | instid1(VALU_DEP_1)
	v_dual_mul_f32 v8, v0, v0 :: v_dual_and_b32 v7, 1, v7
	v_fmaak_f32 v9, s19, v8, 0xbf039337
	v_fmaak_f32 v15, s15, v8, 0x3ec54587
	s_delay_alu instid0(VALU_DEP_3) | instskip(NEXT) | instid1(VALU_DEP_3)
	v_cmp_eq_u32_e32 vcc_lo, 0, v7
	v_fmaak_f32 v9, v8, v9, 0x3f93f425
	s_delay_alu instid0(VALU_DEP_1) | instskip(SKIP_2) | instid1(VALU_DEP_1)
	v_rcp_f32_e32 v9, v9
	s_waitcnt_depctr 0xfff
	v_mul_f32_e32 v9, v15, v9
	v_mul_f32_e32 v8, v8, v9
	s_delay_alu instid0(VALU_DEP_1) | instskip(NEXT) | instid1(VALU_DEP_1)
	v_fma_f32 v9, v8, v0, v0
	v_rcp_f32_e32 v15, v9
	v_sub_f32_e32 v43, v9, v0
	s_delay_alu instid0(VALU_DEP_1) | instskip(SKIP_2) | instid1(VALU_DEP_1)
	v_fma_f32 v0, v8, v0, -v43
	s_waitcnt_depctr 0xfff
	v_fma_f32 v8, v9, -v15, 1.0
	v_fma_f32 v0, v0, -v15, v8
	s_delay_alu instid0(VALU_DEP_1) | instskip(NEXT) | instid1(VALU_DEP_1)
	v_fma_f32 v0, v0, -v15, -v15
	v_cndmask_b32_e32 v0, v0, v9, vcc_lo
	v_cmp_class_f32_e64 vcc_lo, v5, 0x1f8
	s_delay_alu instid0(VALU_DEP_2) | instskip(SKIP_1) | instid1(VALU_DEP_2)
	v_xor3_b32 v0, v6, v5, v0
	v_add_nc_u32_e32 v6, s20, v39
	v_cndmask_b32_e32 v0, 0x7fc00000, v0, vcc_lo
	s_delay_alu instid0(VALU_DEP_2) | instskip(NEXT) | instid1(VALU_DEP_2)
	v_ashrrev_i32_e32 v7, 31, v6
	v_fma_f32 v0, s10, v0, s9
	s_delay_alu instid0(VALU_DEP_1) | instskip(NEXT) | instid1(VALU_DEP_1)
	v_bfe_u32 v5, v0, 16, 1
	v_add3_u32 v5, v0, v5, 0x7fff
	s_delay_alu instid0(VALU_DEP_1) | instskip(SKIP_3) | instid1(VALU_DEP_4)
	v_lshrrev_b32_e32 v8, 16, v5
	v_add_co_u32 v5, vcc_lo, s12, v6
	v_add_co_ci_u32_e32 v6, vcc_lo, s13, v7, vcc_lo
	v_cmp_o_f32_e32 vcc_lo, v0, v0
	v_cndmask_b32_e32 v0, 0x7fc0, v8, vcc_lo
	global_store_b16 v[5:6], v0, off
.LBB14_8:                               ;   in Loop: Header=BB14_9 Depth=1
	s_or_b32 exec_lo, exec_lo, s21
	v_add_co_u32 v12, vcc_lo, v12, s16
	v_add_co_ci_u32_e32 v13, vcc_lo, 0, v13, vcc_lo
	v_mov_b32_e32 v5, v14
	s_add_i32 s20, s20, s8
	s_waitcnt_vscnt null, 0x0
	s_delay_alu instid0(VALU_DEP_2)
	v_cmp_le_i64_e32 vcc_lo, s[6:7], v[12:13]
	s_barrier
	v_mov_b32_e32 v8, v5
	v_dual_mov_b32 v7, v4 :: v_dual_mov_b32 v6, v3
	v_mov_b32_e32 v5, v2
	s_or_b32 s3, vcc_lo, s3
	buffer_gl0_inv
	s_and_not1_b32 exec_lo, exec_lo, s3
	s_cbranch_execz .LBB14_42
.LBB14_9:                               ; =>This Inner Loop Header: Depth=1
	v_add_co_u32 v16, vcc_lo, v16, 1
	s_delay_alu instid0(VALU_DEP_1) | instskip(SKIP_1) | instid1(VALU_DEP_3)
	v_cndmask_b32_e64 v0, 0, 1, vcc_lo
	v_add_co_ci_u32_e32 v17, vcc_lo, 0, v17, vcc_lo
	v_mad_u64_u32 v[2:3], null, 0xd2511f53, v16, 0
	s_mov_b32 s0, exec_lo
	s_delay_alu instid0(VALU_DEP_2) | instskip(SKIP_1) | instid1(VALU_DEP_1)
	v_cmp_eq_u32_e32 vcc_lo, 0, v17
	v_cndmask_b32_e32 v0, 0, v0, vcc_lo
	v_add_nc_u32_e32 v36, v0, v36
	s_delay_alu instid0(VALU_DEP_1) | instskip(SKIP_2) | instid1(VALU_DEP_2)
	v_cmp_eq_u32_e32 vcc_lo, 0, v36
	v_mad_u64_u32 v[14:15], null, 0xcd9e8d57, v36, 0
	v_cndmask_b32_e32 v0, 0, v0, vcc_lo
	v_xor3_b32 v9, v15, v10, v17
	s_delay_alu instid0(VALU_DEP_2) | instskip(SKIP_1) | instid1(VALU_DEP_3)
	v_add_nc_u32_e32 v42, v0, v42
	v_xor_b32_e32 v0, v3, v11
	v_mad_u64_u32 v[3:4], null, 0xd2511f53, v9, 0
	s_delay_alu instid0(VALU_DEP_2) | instskip(NEXT) | instid1(VALU_DEP_1)
	v_xor_b32_e32 v0, v42, v0
	v_mad_u64_u32 v[43:44], null, 0xcd9e8d57, v0, 0
	s_delay_alu instid0(VALU_DEP_3) | instskip(NEXT) | instid1(VALU_DEP_2)
	v_xor3_b32 v0, v18, v4, v2
	v_xor3_b32 v2, v19, v44, v14
	s_delay_alu instid0(VALU_DEP_2) | instskip(NEXT) | instid1(VALU_DEP_2)
	v_mad_u64_u32 v[14:15], null, 0xcd9e8d57, v0, 0
	v_mad_u64_u32 v[44:45], null, 0xd2511f53, v2, 0
	s_delay_alu instid0(VALU_DEP_2) | instskip(NEXT) | instid1(VALU_DEP_2)
	v_xor3_b32 v0, v20, v15, v43
	v_xor3_b32 v4, v21, v45, v3
	s_delay_alu instid0(VALU_DEP_2) | instskip(NEXT) | instid1(VALU_DEP_2)
	v_mad_u64_u32 v[2:3], null, 0xd2511f53, v0, 0
	v_mad_u64_u32 v[45:46], null, 0xcd9e8d57, v4, 0
	s_delay_alu instid0(VALU_DEP_2) | instskip(NEXT) | instid1(VALU_DEP_2)
	;; [unrolled: 6-line block ×8, first 2 shown]
	v_xor3_b32 v9, v15, v46, v28
	v_xor3_b32 v2, v4, v44, v27
	s_delay_alu instid0(VALU_DEP_2)
	v_mov_b32_e32 v4, v9
	v_cmpx_lt_i32_e32 1, v25
	s_xor_b32 s0, exec_lo, s0
	s_cbranch_execnz .LBB14_12
; %bb.10:                               ;   in Loop: Header=BB14_9 Depth=1
	s_and_not1_saveexec_b32 s0, s0
	s_cbranch_execnz .LBB14_17
.LBB14_11:                              ;   in Loop: Header=BB14_9 Depth=1
	s_or_b32 exec_lo, exec_lo, s0
	s_delay_alu instid0(SALU_CYCLE_1)
	s_mov_b32 s21, exec_lo
	v_cmpx_gt_i64_e64 s[4:5], v[12:13]
	s_cbranch_execnz .LBB14_20
	s_branch .LBB14_25
.LBB14_12:                              ;   in Loop: Header=BB14_9 Depth=1
	s_mov_b32 s1, exec_lo
	v_cmpx_lt_i32_e32 2, v25
	s_xor_b32 s1, exec_lo, s1
; %bb.13:                               ;   in Loop: Header=BB14_9 Depth=1
	v_dual_mov_b32 v6, v8 :: v_dual_mov_b32 v7, v2
	v_mov_b32_e32 v8, v3
	s_delay_alu instid0(VALU_DEP_2) | instskip(NEXT) | instid1(VALU_DEP_3)
	v_mov_b32_e32 v5, v6
	v_mov_b32_e32 v6, v7
	s_delay_alu instid0(VALU_DEP_3)
	v_mov_b32_e32 v7, v8
	v_mov_b32_e32 v8, v9
; %bb.14:                               ;   in Loop: Header=BB14_9 Depth=1
	s_and_not1_saveexec_b32 s1, s1
; %bb.15:                               ;   in Loop: Header=BB14_9 Depth=1
	s_delay_alu instid0(VALU_DEP_1)
	v_dual_mov_b32 v5, v7 :: v_dual_mov_b32 v6, v8
	v_dual_mov_b32 v7, v2 :: v_dual_mov_b32 v8, v3
; %bb.16:                               ;   in Loop: Header=BB14_9 Depth=1
	s_or_b32 exec_lo, exec_lo, s1
	s_and_not1_saveexec_b32 s0, s0
	s_cbranch_execz .LBB14_11
.LBB14_17:                              ;   in Loop: Header=BB14_9 Depth=1
	s_mov_b32 s1, exec_lo
	v_cmpx_eq_u32_e32 1, v25
; %bb.18:                               ;   in Loop: Header=BB14_9 Depth=1
	v_dual_mov_b32 v5, v6 :: v_dual_mov_b32 v6, v7
	v_dual_mov_b32 v7, v8 :: v_dual_mov_b32 v8, v2
; %bb.19:                               ;   in Loop: Header=BB14_9 Depth=1
	s_or_b32 exec_lo, exec_lo, s1
	s_delay_alu instid0(SALU_CYCLE_1) | instskip(NEXT) | instid1(SALU_CYCLE_1)
	s_or_b32 exec_lo, exec_lo, s0
	s_mov_b32 s21, exec_lo
	v_cmpx_gt_i64_e64 s[4:5], v[12:13]
	s_cbranch_execz .LBB14_25
.LBB14_20:                              ;   in Loop: Header=BB14_9 Depth=1
	v_cvt_f32_u32_e32 v0, v5
                                        ; implicit-def: $vgpr15
	s_mov_b32 s1, exec_lo
	s_delay_alu instid0(VALU_DEP_1) | instskip(NEXT) | instid1(VALU_DEP_1)
	v_fmaak_f32 v0, 0x2f800000, v0, 0x2f800000
	v_cmp_nlt_f32_e32 vcc_lo, 0x3f7ffffe, v0
	v_cndmask_b32_e32 v0, 0x3f7ffffe, v0, vcc_lo
	s_delay_alu instid0(VALU_DEP_1) | instskip(SKIP_1) | instid1(VALU_DEP_1)
	v_cmp_ngt_f32_e32 vcc_lo, 0x34000000, v0
	v_cndmask_b32_e32 v0, 0x34000000, v0, vcc_lo
	v_add_f32_e32 v0, -0.5, v0
	s_delay_alu instid0(VALU_DEP_1) | instskip(NEXT) | instid1(VALU_DEP_1)
	v_mul_f32_e32 v5, 0x40490fdb, v0
                                        ; implicit-def: $vgpr0
	v_and_b32_e32 v9, 0x7fffffff, v5
	v_cmpx_ngt_f32_e64 0x48000000, |v5|
	s_xor_b32 s22, exec_lo, s1
	s_cbranch_execz .LBB14_22
; %bb.21:                               ;   in Loop: Header=BB14_9 Depth=1
	s_delay_alu instid0(VALU_DEP_2) | instskip(SKIP_1) | instid1(VALU_DEP_2)
	v_and_or_b32 v15, v9, s18, 0x800000
	v_lshrrev_b32_e32 v48, 23, v9
	v_mad_u64_u32 v[43:44], null, 0xfe5163ab, v15, 0
	s_delay_alu instid0(VALU_DEP_2) | instskip(NEXT) | instid1(VALU_DEP_1)
	v_add_nc_u32_e32 v49, 0xffffff88, v48
	v_cmp_lt_u32_e32 vcc_lo, 63, v49
	s_delay_alu instid0(VALU_DEP_3) | instskip(SKIP_1) | instid1(VALU_DEP_2)
	v_mov_b32_e32 v0, v44
	v_cndmask_b32_e64 v50, 0, 0xffffffc0, vcc_lo
	v_mad_u64_u32 v[44:45], null, 0x3c439041, v15, v[0:1]
	s_delay_alu instid0(VALU_DEP_2) | instskip(NEXT) | instid1(VALU_DEP_1)
	v_add_nc_u32_e32 v50, v50, v49
	v_cmp_lt_u32_e64 s0, 31, v50
	s_delay_alu instid0(VALU_DEP_1) | instskip(NEXT) | instid1(VALU_DEP_1)
	v_cndmask_b32_e64 v51, 0, 0xffffffe0, s0
	v_dual_mov_b32 v0, v45 :: v_dual_add_nc_u32 v51, v51, v50
	s_delay_alu instid0(VALU_DEP_1) | instskip(NEXT) | instid1(VALU_DEP_2)
	v_mad_u64_u32 v[45:46], null, 0xdb629599, v15, v[0:1]
	v_cmp_lt_u32_e64 s1, 31, v51
	s_delay_alu instid0(VALU_DEP_2) | instskip(NEXT) | instid1(VALU_DEP_1)
	v_dual_mov_b32 v0, v46 :: v_dual_cndmask_b32 v43, v45, v43
	v_mad_u64_u32 v[46:47], null, 0xf534ddc0, v15, v[0:1]
	s_delay_alu instid0(VALU_DEP_1) | instskip(NEXT) | instid1(VALU_DEP_2)
	v_mov_b32_e32 v0, v47
	v_cndmask_b32_e32 v44, v46, v44, vcc_lo
	s_delay_alu instid0(VALU_DEP_2) | instskip(NEXT) | instid1(VALU_DEP_2)
	v_mad_u64_u32 v[47:48], null, 0xfc2757d1, v15, v[0:1]
	v_cndmask_b32_e64 v43, v44, v43, s0
	s_delay_alu instid0(VALU_DEP_2) | instskip(NEXT) | instid1(VALU_DEP_1)
	v_mov_b32_e32 v0, v48
	v_mad_u64_u32 v[48:49], null, 0x4e441529, v15, v[0:1]
	s_delay_alu instid0(VALU_DEP_1) | instskip(NEXT) | instid1(VALU_DEP_1)
	v_mov_b32_e32 v0, v49
	v_mad_u64_u32 v[49:50], null, 0xa2f9836e, v15, v[0:1]
	v_cndmask_b32_e64 v0, 0, 0xffffffe0, s1
	s_delay_alu instid0(VALU_DEP_4) | instskip(NEXT) | instid1(VALU_DEP_2)
	v_cndmask_b32_e32 v15, v48, v46, vcc_lo
	v_add_nc_u32_e32 v0, v0, v51
	s_delay_alu instid0(VALU_DEP_4) | instskip(SKIP_1) | instid1(VALU_DEP_3)
	v_dual_cndmask_b32 v49, v49, v47 :: v_dual_cndmask_b32 v48, v50, v48
	v_cndmask_b32_e32 v47, v47, v45, vcc_lo
	v_cmp_eq_u32_e64 s2, 0, v0
	s_delay_alu instid0(VALU_DEP_3) | instskip(NEXT) | instid1(VALU_DEP_4)
	v_cndmask_b32_e64 v46, v49, v15, s0
	v_cndmask_b32_e64 v48, v48, v49, s0
	s_delay_alu instid0(VALU_DEP_4) | instskip(SKIP_2) | instid1(VALU_DEP_4)
	v_cndmask_b32_e64 v15, v15, v47, s0
	v_sub_nc_u32_e32 v49, 32, v0
	v_cndmask_b32_e64 v47, v47, v44, s0
	v_cndmask_b32_e64 v48, v48, v46, s1
	s_delay_alu instid0(VALU_DEP_4) | instskip(NEXT) | instid1(VALU_DEP_3)
	v_cndmask_b32_e64 v46, v46, v15, s1
	v_cndmask_b32_e64 v15, v15, v47, s1
	;; [unrolled: 1-line block ×3, first 2 shown]
	s_delay_alu instid0(VALU_DEP_3) | instskip(NEXT) | instid1(VALU_DEP_3)
	v_alignbit_b32 v50, v48, v46, v49
	v_alignbit_b32 v51, v46, v15, v49
	s_delay_alu instid0(VALU_DEP_3) | instskip(NEXT) | instid1(VALU_DEP_3)
	v_alignbit_b32 v49, v15, v43, v49
	v_cndmask_b32_e64 v0, v50, v48, s2
	s_delay_alu instid0(VALU_DEP_3) | instskip(NEXT) | instid1(VALU_DEP_3)
	v_cndmask_b32_e64 v45, v51, v46, s2
	v_cndmask_b32_e64 v15, v49, v15, s2
	s_delay_alu instid0(VALU_DEP_3) | instskip(NEXT) | instid1(VALU_DEP_3)
	v_bfe_u32 v46, v0, 29, 1
	v_alignbit_b32 v44, v0, v45, 30
	s_delay_alu instid0(VALU_DEP_3) | instskip(SKIP_1) | instid1(VALU_DEP_4)
	v_alignbit_b32 v45, v45, v15, 30
	v_alignbit_b32 v15, v15, v43, 30
	v_sub_nc_u32_e32 v48, 0, v46
	s_delay_alu instid0(VALU_DEP_1) | instskip(SKIP_3) | instid1(VALU_DEP_4)
	v_xor_b32_e32 v47, v44, v48
	v_cmp_ne_u32_e32 vcc_lo, v44, v48
	v_xor_b32_e32 v43, v45, v48
	v_xor_b32_e32 v15, v15, v48
	v_clz_i32_u32_e32 v50, v47
	s_delay_alu instid0(VALU_DEP_1) | instskip(NEXT) | instid1(VALU_DEP_1)
	v_add_nc_u32_e32 v49, 1, v50
	v_cndmask_b32_e32 v44, 33, v49, vcc_lo
	s_delay_alu instid0(VALU_DEP_1) | instskip(NEXT) | instid1(VALU_DEP_1)
	v_sub_nc_u32_e32 v45, 32, v44
	v_alignbit_b32 v47, v47, v43, v45
	v_alignbit_b32 v15, v43, v15, v45
	v_lshrrev_b32_e32 v43, 29, v0
	s_delay_alu instid0(VALU_DEP_2) | instskip(NEXT) | instid1(VALU_DEP_2)
	v_alignbit_b32 v45, v47, v15, 9
	v_lshlrev_b32_e32 v43, 31, v43
	v_alignbit_b32 v47, v44, v47, 9
	s_delay_alu instid0(VALU_DEP_3) | instskip(NEXT) | instid1(VALU_DEP_2)
	v_clz_i32_u32_e32 v48, v45
	v_or_b32_e32 v47, v47, v43
	v_or_b32_e32 v43, 0x33800000, v43
	s_delay_alu instid0(VALU_DEP_3) | instskip(NEXT) | instid1(VALU_DEP_3)
	v_min_u32_e32 v48, 32, v48
	v_xor_b32_e32 v47, 1.0, v47
	s_delay_alu instid0(VALU_DEP_2) | instskip(SKIP_1) | instid1(VALU_DEP_3)
	v_sub_nc_u32_e32 v49, 31, v48
	v_add_lshl_u32 v44, v48, v44, 23
	v_mul_f32_e32 v48, 0x3fc90fda, v47
	s_delay_alu instid0(VALU_DEP_3) | instskip(NEXT) | instid1(VALU_DEP_3)
	v_alignbit_b32 v15, v45, v15, v49
	v_sub_nc_u32_e32 v43, v43, v44
	s_delay_alu instid0(VALU_DEP_3) | instskip(NEXT) | instid1(VALU_DEP_3)
	v_fma_f32 v44, 0x3fc90fda, v47, -v48
	v_lshrrev_b32_e32 v15, 9, v15
	s_delay_alu instid0(VALU_DEP_2) | instskip(NEXT) | instid1(VALU_DEP_2)
	v_fmac_f32_e32 v44, 0x33a22168, v47
	v_or_b32_e32 v15, v43, v15
	s_delay_alu instid0(VALU_DEP_1) | instskip(SKIP_1) | instid1(VALU_DEP_1)
	v_fmac_f32_e32 v44, 0x3fc90fda, v15
	v_lshrrev_b32_e32 v15, 30, v0
	v_dual_add_f32 v0, v48, v44 :: v_dual_add_nc_u32 v15, v46, v15
.LBB14_22:                              ;   in Loop: Header=BB14_9 Depth=1
	s_and_not1_saveexec_b32 s0, s22
; %bb.23:                               ;   in Loop: Header=BB14_9 Depth=1
	v_mul_f32_e64 v0, 0x3f22f983, |v5|
	s_delay_alu instid0(VALU_DEP_1) | instskip(NEXT) | instid1(VALU_DEP_1)
	v_rndne_f32_e32 v15, v0
	v_fma_f32 v0, 0xbfc90fda, v15, |v5|
	s_delay_alu instid0(VALU_DEP_1) | instskip(NEXT) | instid1(VALU_DEP_1)
	v_fmac_f32_e32 v0, 0xb3a22168, v15
	v_fmac_f32_e32 v0, 0xa7c234c4, v15
	v_cvt_i32_f32_e32 v15, v15
; %bb.24:                               ;   in Loop: Header=BB14_9 Depth=1
	s_or_b32 exec_lo, exec_lo, s0
	s_delay_alu instid0(VALU_DEP_2) | instskip(NEXT) | instid1(VALU_DEP_2)
	v_mul_f32_e32 v43, v0, v0
	v_and_b32_e32 v15, 1, v15
	s_delay_alu instid0(VALU_DEP_2) | instskip(SKIP_1) | instid1(VALU_DEP_3)
	v_fmaak_f32 v44, s19, v43, 0xbf039337
	v_fmaak_f32 v45, s15, v43, 0x3ec54587
	v_cmp_eq_u32_e32 vcc_lo, 0, v15
	s_delay_alu instid0(VALU_DEP_3) | instskip(NEXT) | instid1(VALU_DEP_1)
	v_fmaak_f32 v44, v43, v44, 0x3f93f425
	v_rcp_f32_e32 v44, v44
	s_waitcnt_depctr 0xfff
	v_mul_f32_e32 v44, v45, v44
	s_delay_alu instid0(VALU_DEP_1) | instskip(NEXT) | instid1(VALU_DEP_1)
	v_mul_f32_e32 v43, v43, v44
	v_fma_f32 v44, v43, v0, v0
	s_delay_alu instid0(VALU_DEP_1) | instskip(SKIP_1) | instid1(VALU_DEP_1)
	v_rcp_f32_e32 v45, v44
	v_sub_f32_e32 v46, v44, v0
	v_fma_f32 v0, v43, v0, -v46
	s_waitcnt_depctr 0xfff
	v_fma_f32 v43, v44, -v45, 1.0
	s_delay_alu instid0(VALU_DEP_1) | instskip(NEXT) | instid1(VALU_DEP_1)
	v_fma_f32 v0, v0, -v45, v43
	v_fma_f32 v0, v0, -v45, -v45
	s_delay_alu instid0(VALU_DEP_1) | instskip(SKIP_1) | instid1(VALU_DEP_2)
	v_cndmask_b32_e32 v0, v0, v44, vcc_lo
	v_cmp_class_f32_e64 vcc_lo, v5, 0x1f8
	v_xor3_b32 v0, v9, v5, v0
	v_add_nc_u32_e32 v9, s20, v38
	s_delay_alu instid0(VALU_DEP_2) | instskip(NEXT) | instid1(VALU_DEP_2)
	v_cndmask_b32_e32 v0, 0x7fc00000, v0, vcc_lo
	v_ashrrev_i32_e32 v15, 31, v9
	v_add_co_u32 v43, vcc_lo, s12, v9
	s_delay_alu instid0(VALU_DEP_3) | instskip(NEXT) | instid1(VALU_DEP_3)
	v_fma_f32 v0, s10, v0, s9
	v_add_co_ci_u32_e32 v44, vcc_lo, s13, v15, vcc_lo
	s_delay_alu instid0(VALU_DEP_2) | instskip(SKIP_1) | instid1(VALU_DEP_2)
	v_bfe_u32 v5, v0, 16, 1
	v_cmp_o_f32_e32 vcc_lo, v0, v0
	v_add3_u32 v5, v0, v5, 0x7fff
	s_delay_alu instid0(VALU_DEP_1) | instskip(NEXT) | instid1(VALU_DEP_1)
	v_lshrrev_b32_e32 v5, 16, v5
	v_cndmask_b32_e32 v0, 0x7fc0, v5, vcc_lo
	global_store_b16 v[43:44], v0, off
.LBB14_25:                              ;   in Loop: Header=BB14_9 Depth=1
	s_or_b32 exec_lo, exec_lo, s21
	v_add_co_u32 v43, vcc_lo, s14, v12
	v_add_co_ci_u32_e32 v44, vcc_lo, 0, v13, vcc_lo
	s_mov_b32 s21, exec_lo
	s_delay_alu instid0(VALU_DEP_1)
	v_cmpx_gt_i64_e64 s[4:5], v[43:44]
	s_cbranch_execz .LBB14_31
; %bb.26:                               ;   in Loop: Header=BB14_9 Depth=1
	v_cvt_f32_u32_e32 v0, v6
                                        ; implicit-def: $vgpr9
	s_mov_b32 s1, exec_lo
	s_delay_alu instid0(VALU_DEP_1) | instskip(NEXT) | instid1(VALU_DEP_1)
	v_fmaak_f32 v0, 0x2f800000, v0, 0x2f800000
	v_cmp_nlt_f32_e32 vcc_lo, 0x3f7ffffe, v0
	v_cndmask_b32_e32 v0, 0x3f7ffffe, v0, vcc_lo
	s_delay_alu instid0(VALU_DEP_1) | instskip(SKIP_1) | instid1(VALU_DEP_1)
	v_cmp_ngt_f32_e32 vcc_lo, 0x34000000, v0
	v_cndmask_b32_e32 v0, 0x34000000, v0, vcc_lo
	v_add_f32_e32 v0, -0.5, v0
	s_delay_alu instid0(VALU_DEP_1) | instskip(NEXT) | instid1(VALU_DEP_1)
	v_mul_f32_e32 v5, 0x40490fdb, v0
                                        ; implicit-def: $vgpr0
	v_and_b32_e32 v6, 0x7fffffff, v5
	v_cmpx_ngt_f32_e64 0x48000000, |v5|
	s_xor_b32 s22, exec_lo, s1
	s_cbranch_execz .LBB14_28
; %bb.27:                               ;   in Loop: Header=BB14_9 Depth=1
	s_delay_alu instid0(VALU_DEP_2) | instskip(SKIP_1) | instid1(VALU_DEP_2)
	v_and_or_b32 v9, v6, s18, 0x800000
	v_lshrrev_b32_e32 v15, 23, v6
	v_mad_u64_u32 v[43:44], null, 0xfe5163ab, v9, 0
	s_delay_alu instid0(VALU_DEP_2) | instskip(NEXT) | instid1(VALU_DEP_1)
	v_add_nc_u32_e32 v15, 0xffffff88, v15
	v_cmp_lt_u32_e32 vcc_lo, 63, v15
	s_delay_alu instid0(VALU_DEP_3) | instskip(SKIP_1) | instid1(VALU_DEP_2)
	v_mov_b32_e32 v0, v44
	v_cndmask_b32_e64 v49, 0, 0xffffffc0, vcc_lo
	v_mad_u64_u32 v[44:45], null, 0x3c439041, v9, v[0:1]
	s_delay_alu instid0(VALU_DEP_2) | instskip(NEXT) | instid1(VALU_DEP_1)
	v_add_nc_u32_e32 v15, v49, v15
	v_cmp_lt_u32_e64 s0, 31, v15
	s_delay_alu instid0(VALU_DEP_1) | instskip(NEXT) | instid1(VALU_DEP_1)
	v_cndmask_b32_e64 v50, 0, 0xffffffe0, s0
	v_dual_mov_b32 v0, v45 :: v_dual_add_nc_u32 v15, v50, v15
	s_delay_alu instid0(VALU_DEP_1) | instskip(NEXT) | instid1(VALU_DEP_2)
	v_mad_u64_u32 v[45:46], null, 0xdb629599, v9, v[0:1]
	v_cmp_lt_u32_e64 s1, 31, v15
	s_delay_alu instid0(VALU_DEP_2) | instskip(NEXT) | instid1(VALU_DEP_1)
	v_dual_mov_b32 v0, v46 :: v_dual_cndmask_b32 v43, v45, v43
	v_mad_u64_u32 v[46:47], null, 0xf534ddc0, v9, v[0:1]
	s_delay_alu instid0(VALU_DEP_1) | instskip(NEXT) | instid1(VALU_DEP_1)
	v_mov_b32_e32 v0, v47
	v_mad_u64_u32 v[47:48], null, 0xfc2757d1, v9, v[0:1]
	s_delay_alu instid0(VALU_DEP_1) | instskip(NEXT) | instid1(VALU_DEP_1)
	v_mov_b32_e32 v0, v48
	;; [unrolled: 3-line block ×3, first 2 shown]
	v_mad_u64_u32 v[49:50], null, 0xa2f9836e, v9, v[0:1]
	v_cndmask_b32_e64 v0, 0, 0xffffffe0, s1
	s_delay_alu instid0(VALU_DEP_4) | instskip(NEXT) | instid1(VALU_DEP_2)
	v_cndmask_b32_e32 v9, v48, v46, vcc_lo
	v_dual_cndmask_b32 v15, v46, v44 :: v_dual_add_nc_u32 v0, v0, v15
	s_delay_alu instid0(VALU_DEP_4) | instskip(SKIP_1) | instid1(VALU_DEP_3)
	v_dual_cndmask_b32 v49, v49, v47 :: v_dual_cndmask_b32 v48, v50, v48
	v_cndmask_b32_e32 v47, v47, v45, vcc_lo
	v_cmp_eq_u32_e64 s2, 0, v0
	s_delay_alu instid0(VALU_DEP_3) | instskip(NEXT) | instid1(VALU_DEP_4)
	v_cndmask_b32_e64 v44, v49, v9, s0
	v_cndmask_b32_e64 v46, v48, v49, s0
	s_delay_alu instid0(VALU_DEP_4)
	v_cndmask_b32_e64 v9, v9, v47, s0
	v_sub_nc_u32_e32 v48, 32, v0
	v_cndmask_b32_e64 v47, v47, v15, s0
	v_cndmask_b32_e64 v15, v15, v43, s0
	;; [unrolled: 1-line block ×4, first 2 shown]
	s_delay_alu instid0(VALU_DEP_4) | instskip(NEXT) | instid1(VALU_DEP_4)
	v_cndmask_b32_e64 v9, v9, v47, s1
	v_cndmask_b32_e64 v15, v47, v15, s1
	s_delay_alu instid0(VALU_DEP_3) | instskip(NEXT) | instid1(VALU_DEP_3)
	v_alignbit_b32 v49, v46, v44, v48
	v_alignbit_b32 v50, v44, v9, v48
	s_delay_alu instid0(VALU_DEP_3) | instskip(NEXT) | instid1(VALU_DEP_3)
	v_alignbit_b32 v48, v9, v15, v48
	v_cndmask_b32_e64 v0, v49, v46, s2
	s_delay_alu instid0(VALU_DEP_3) | instskip(NEXT) | instid1(VALU_DEP_3)
	v_cndmask_b32_e64 v44, v50, v44, s2
	v_cndmask_b32_e64 v9, v48, v9, s2
	s_delay_alu instid0(VALU_DEP_3) | instskip(NEXT) | instid1(VALU_DEP_3)
	v_bfe_u32 v45, v0, 29, 1
	v_alignbit_b32 v43, v0, v44, 30
	s_delay_alu instid0(VALU_DEP_3) | instskip(SKIP_1) | instid1(VALU_DEP_4)
	v_alignbit_b32 v44, v44, v9, 30
	v_alignbit_b32 v9, v9, v15, 30
	v_sub_nc_u32_e32 v46, 0, v45
	s_delay_alu instid0(VALU_DEP_1) | instskip(SKIP_3) | instid1(VALU_DEP_4)
	v_xor_b32_e32 v47, v43, v46
	v_cmp_ne_u32_e32 vcc_lo, v43, v46
	v_xor_b32_e32 v15, v44, v46
	v_xor_b32_e32 v9, v9, v46
	v_clz_i32_u32_e32 v49, v47
	s_delay_alu instid0(VALU_DEP_1) | instskip(NEXT) | instid1(VALU_DEP_1)
	v_add_nc_u32_e32 v48, 1, v49
	v_cndmask_b32_e32 v43, 33, v48, vcc_lo
	s_delay_alu instid0(VALU_DEP_1) | instskip(NEXT) | instid1(VALU_DEP_1)
	v_sub_nc_u32_e32 v44, 32, v43
	v_alignbit_b32 v46, v47, v15, v44
	v_alignbit_b32 v9, v15, v9, v44
	v_lshrrev_b32_e32 v15, 29, v0
	s_delay_alu instid0(VALU_DEP_2) | instskip(NEXT) | instid1(VALU_DEP_2)
	v_alignbit_b32 v44, v46, v9, 9
	v_lshlrev_b32_e32 v15, 31, v15
	v_alignbit_b32 v46, v43, v46, 9
	s_delay_alu instid0(VALU_DEP_3) | instskip(NEXT) | instid1(VALU_DEP_2)
	v_clz_i32_u32_e32 v47, v44
	v_or_b32_e32 v46, v46, v15
	v_or_b32_e32 v15, 0x33800000, v15
	s_delay_alu instid0(VALU_DEP_3) | instskip(NEXT) | instid1(VALU_DEP_3)
	v_min_u32_e32 v47, 32, v47
	v_xor_b32_e32 v46, 1.0, v46
	s_delay_alu instid0(VALU_DEP_2) | instskip(SKIP_1) | instid1(VALU_DEP_3)
	v_sub_nc_u32_e32 v48, 31, v47
	v_add_lshl_u32 v43, v47, v43, 23
	v_mul_f32_e32 v47, 0x3fc90fda, v46
	s_delay_alu instid0(VALU_DEP_3) | instskip(NEXT) | instid1(VALU_DEP_3)
	v_alignbit_b32 v9, v44, v9, v48
	v_sub_nc_u32_e32 v15, v15, v43
	s_delay_alu instid0(VALU_DEP_3) | instskip(NEXT) | instid1(VALU_DEP_3)
	v_fma_f32 v43, 0x3fc90fda, v46, -v47
	v_lshrrev_b32_e32 v9, 9, v9
	s_delay_alu instid0(VALU_DEP_2) | instskip(NEXT) | instid1(VALU_DEP_2)
	v_fmac_f32_e32 v43, 0x33a22168, v46
	v_or_b32_e32 v9, v15, v9
	s_delay_alu instid0(VALU_DEP_1) | instskip(SKIP_1) | instid1(VALU_DEP_1)
	v_fmac_f32_e32 v43, 0x3fc90fda, v9
	v_lshrrev_b32_e32 v9, 30, v0
	v_dual_add_f32 v0, v47, v43 :: v_dual_add_nc_u32 v9, v45, v9
.LBB14_28:                              ;   in Loop: Header=BB14_9 Depth=1
	s_and_not1_saveexec_b32 s0, s22
; %bb.29:                               ;   in Loop: Header=BB14_9 Depth=1
	v_mul_f32_e64 v0, 0x3f22f983, |v5|
	s_delay_alu instid0(VALU_DEP_1) | instskip(NEXT) | instid1(VALU_DEP_1)
	v_rndne_f32_e32 v9, v0
	v_fma_f32 v0, 0xbfc90fda, v9, |v5|
	s_delay_alu instid0(VALU_DEP_1) | instskip(NEXT) | instid1(VALU_DEP_1)
	v_fmac_f32_e32 v0, 0xb3a22168, v9
	v_fmac_f32_e32 v0, 0xa7c234c4, v9
	v_cvt_i32_f32_e32 v9, v9
; %bb.30:                               ;   in Loop: Header=BB14_9 Depth=1
	s_or_b32 exec_lo, exec_lo, s0
	s_delay_alu instid0(VALU_DEP_2) | instskip(NEXT) | instid1(VALU_DEP_1)
	v_mul_f32_e32 v15, v0, v0
	v_fmaak_f32 v43, s19, v15, 0xbf039337
	v_fmaak_f32 v44, s15, v15, 0x3ec54587
	s_delay_alu instid0(VALU_DEP_2) | instskip(NEXT) | instid1(VALU_DEP_1)
	v_fmaak_f32 v43, v15, v43, 0x3f93f425
	v_rcp_f32_e32 v43, v43
	s_waitcnt_depctr 0xfff
	v_mul_f32_e32 v43, v44, v43
	s_delay_alu instid0(VALU_DEP_1) | instskip(NEXT) | instid1(VALU_DEP_1)
	v_mul_f32_e32 v15, v15, v43
	v_fma_f32 v43, v15, v0, v0
	s_delay_alu instid0(VALU_DEP_1) | instskip(SKIP_1) | instid1(VALU_DEP_1)
	v_rcp_f32_e32 v44, v43
	v_sub_f32_e32 v45, v43, v0
	v_fma_f32 v0, v15, v0, -v45
	s_waitcnt_depctr 0xfff
	v_fma_f32 v15, v43, -v44, 1.0
	s_delay_alu instid0(VALU_DEP_1) | instskip(NEXT) | instid1(VALU_DEP_1)
	v_fma_f32 v0, v0, -v44, v15
	v_fma_f32 v0, v0, -v44, -v44
	v_and_b32_e32 v9, 1, v9
	s_delay_alu instid0(VALU_DEP_1) | instskip(NEXT) | instid1(VALU_DEP_3)
	v_cmp_eq_u32_e32 vcc_lo, 0, v9
	v_cndmask_b32_e32 v0, v0, v43, vcc_lo
	v_cmp_class_f32_e64 vcc_lo, v5, 0x1f8
	s_delay_alu instid0(VALU_DEP_2) | instskip(SKIP_1) | instid1(VALU_DEP_2)
	v_xor3_b32 v0, v6, v5, v0
	v_add_nc_u32_e32 v6, s20, v41
	v_cndmask_b32_e32 v0, 0x7fc00000, v0, vcc_lo
	s_delay_alu instid0(VALU_DEP_2) | instskip(NEXT) | instid1(VALU_DEP_2)
	v_ashrrev_i32_e32 v9, 31, v6
	v_fma_f32 v0, s10, v0, s9
	s_delay_alu instid0(VALU_DEP_1) | instskip(NEXT) | instid1(VALU_DEP_1)
	v_bfe_u32 v5, v0, 16, 1
	v_add3_u32 v5, v0, v5, 0x7fff
	s_delay_alu instid0(VALU_DEP_1) | instskip(SKIP_3) | instid1(VALU_DEP_4)
	v_lshrrev_b32_e32 v15, 16, v5
	v_add_co_u32 v5, vcc_lo, s12, v6
	v_add_co_ci_u32_e32 v6, vcc_lo, s13, v9, vcc_lo
	v_cmp_o_f32_e32 vcc_lo, v0, v0
	v_cndmask_b32_e32 v0, 0x7fc0, v15, vcc_lo
	global_store_b16 v[5:6], v0, off
.LBB14_31:                              ;   in Loop: Header=BB14_9 Depth=1
	s_or_b32 exec_lo, exec_lo, s21
	v_add_co_u32 v5, vcc_lo, s11, v12
	v_add_co_ci_u32_e32 v6, vcc_lo, 0, v13, vcc_lo
	s_mov_b32 s21, exec_lo
	s_delay_alu instid0(VALU_DEP_1)
	v_cmpx_gt_i64_e64 s[4:5], v[5:6]
	s_cbranch_execz .LBB14_37
; %bb.32:                               ;   in Loop: Header=BB14_9 Depth=1
	v_cvt_f32_u32_e32 v0, v7
                                        ; implicit-def: $vgpr7
	s_mov_b32 s1, exec_lo
	s_delay_alu instid0(VALU_DEP_1) | instskip(NEXT) | instid1(VALU_DEP_1)
	v_fmaak_f32 v0, 0x2f800000, v0, 0x2f800000
	v_cmp_nlt_f32_e32 vcc_lo, 0x3f7ffffe, v0
	v_cndmask_b32_e32 v0, 0x3f7ffffe, v0, vcc_lo
	s_delay_alu instid0(VALU_DEP_1) | instskip(SKIP_1) | instid1(VALU_DEP_1)
	v_cmp_ngt_f32_e32 vcc_lo, 0x34000000, v0
	v_cndmask_b32_e32 v0, 0x34000000, v0, vcc_lo
	v_add_f32_e32 v0, -0.5, v0
	s_delay_alu instid0(VALU_DEP_1) | instskip(NEXT) | instid1(VALU_DEP_1)
	v_mul_f32_e32 v5, 0x40490fdb, v0
                                        ; implicit-def: $vgpr0
	v_and_b32_e32 v6, 0x7fffffff, v5
	v_cmpx_ngt_f32_e64 0x48000000, |v5|
	s_xor_b32 s22, exec_lo, s1
	s_cbranch_execz .LBB14_34
; %bb.33:                               ;   in Loop: Header=BB14_9 Depth=1
	s_delay_alu instid0(VALU_DEP_2) | instskip(SKIP_1) | instid1(VALU_DEP_2)
	v_and_or_b32 v7, v6, s18, 0x800000
	v_lshrrev_b32_e32 v9, 23, v6
	v_mad_u64_u32 v[43:44], null, 0xfe5163ab, v7, 0
	s_delay_alu instid0(VALU_DEP_2) | instskip(NEXT) | instid1(VALU_DEP_1)
	v_add_nc_u32_e32 v9, 0xffffff88, v9
	v_cmp_lt_u32_e32 vcc_lo, 63, v9
	s_delay_alu instid0(VALU_DEP_3) | instskip(SKIP_1) | instid1(VALU_DEP_2)
	v_mov_b32_e32 v0, v44
	v_cndmask_b32_e64 v15, 0, 0xffffffc0, vcc_lo
	v_mad_u64_u32 v[44:45], null, 0x3c439041, v7, v[0:1]
	s_delay_alu instid0(VALU_DEP_1) | instskip(NEXT) | instid1(VALU_DEP_1)
	v_dual_mov_b32 v0, v45 :: v_dual_add_nc_u32 v9, v15, v9
	v_cmp_lt_u32_e64 s0, 31, v9
	s_delay_alu instid0(VALU_DEP_2) | instskip(NEXT) | instid1(VALU_DEP_2)
	v_mad_u64_u32 v[45:46], null, 0xdb629599, v7, v[0:1]
	v_cndmask_b32_e64 v15, 0, 0xffffffe0, s0
	s_delay_alu instid0(VALU_DEP_1) | instskip(NEXT) | instid1(VALU_DEP_1)
	v_dual_mov_b32 v0, v46 :: v_dual_add_nc_u32 v9, v15, v9
	v_cmp_lt_u32_e64 s1, 31, v9
	s_delay_alu instid0(VALU_DEP_2) | instskip(NEXT) | instid1(VALU_DEP_1)
	v_mad_u64_u32 v[46:47], null, 0xf534ddc0, v7, v[0:1]
	v_mov_b32_e32 v0, v47
	s_delay_alu instid0(VALU_DEP_1) | instskip(NEXT) | instid1(VALU_DEP_1)
	v_mad_u64_u32 v[47:48], null, 0xfc2757d1, v7, v[0:1]
	v_mov_b32_e32 v0, v48
	s_delay_alu instid0(VALU_DEP_1) | instskip(NEXT) | instid1(VALU_DEP_1)
	v_mad_u64_u32 v[48:49], null, 0x4e441529, v7, v[0:1]
	v_mov_b32_e32 v0, v49
	s_delay_alu instid0(VALU_DEP_1) | instskip(SKIP_1) | instid1(VALU_DEP_4)
	v_mad_u64_u32 v[49:50], null, 0xa2f9836e, v7, v[0:1]
	v_cndmask_b32_e64 v0, 0, 0xffffffe0, s1
	v_cndmask_b32_e32 v7, v48, v46, vcc_lo
	s_delay_alu instid0(VALU_DEP_2) | instskip(NEXT) | instid1(VALU_DEP_4)
	v_dual_cndmask_b32 v9, v46, v44 :: v_dual_add_nc_u32 v0, v0, v9
	v_dual_cndmask_b32 v15, v49, v47 :: v_dual_cndmask_b32 v48, v50, v48
	v_cndmask_b32_e32 v47, v47, v45, vcc_lo
	s_delay_alu instid0(VALU_DEP_3) | instskip(SKIP_1) | instid1(VALU_DEP_4)
	v_sub_nc_u32_e32 v46, 32, v0
	v_cmp_eq_u32_e64 s2, 0, v0
	v_cndmask_b32_e64 v44, v15, v7, s0
	v_cndmask_b32_e64 v15, v48, v15, s0
	;; [unrolled: 1-line block ×4, first 2 shown]
	s_delay_alu instid0(VALU_DEP_3) | instskip(NEXT) | instid1(VALU_DEP_3)
	v_cndmask_b32_e64 v15, v15, v44, s1
	v_cndmask_b32_e64 v44, v44, v7, s1
	s_delay_alu instid0(VALU_DEP_3) | instskip(NEXT) | instid1(VALU_DEP_2)
	v_cndmask_b32_e64 v7, v7, v47, s1
	v_alignbit_b32 v48, v15, v44, v46
	s_delay_alu instid0(VALU_DEP_2) | instskip(NEXT) | instid1(VALU_DEP_2)
	v_alignbit_b32 v49, v44, v7, v46
	v_cndmask_b32_e64 v0, v48, v15, s2
	v_cndmask_b32_e32 v15, v45, v43, vcc_lo
	s_delay_alu instid0(VALU_DEP_3) | instskip(NEXT) | instid1(VALU_DEP_3)
	v_cndmask_b32_e64 v43, v49, v44, s2
	v_bfe_u32 v44, v0, 29, 1
	s_delay_alu instid0(VALU_DEP_3) | instskip(NEXT) | instid1(VALU_DEP_3)
	v_cndmask_b32_e64 v9, v9, v15, s0
	v_alignbit_b32 v15, v0, v43, 30
	s_delay_alu instid0(VALU_DEP_3) | instskip(NEXT) | instid1(VALU_DEP_3)
	v_sub_nc_u32_e32 v45, 0, v44
	v_cndmask_b32_e64 v9, v47, v9, s1
	s_delay_alu instid0(VALU_DEP_2) | instskip(NEXT) | instid1(VALU_DEP_2)
	v_xor_b32_e32 v47, v15, v45
	v_alignbit_b32 v46, v7, v9, v46
	v_cmp_ne_u32_e32 vcc_lo, v15, v45
	s_delay_alu instid0(VALU_DEP_3) | instskip(NEXT) | instid1(VALU_DEP_3)
	v_clz_i32_u32_e32 v48, v47
	v_cndmask_b32_e64 v7, v46, v7, s2
	s_delay_alu instid0(VALU_DEP_2) | instskip(NEXT) | instid1(VALU_DEP_2)
	v_add_nc_u32_e32 v46, 1, v48
	v_alignbit_b32 v43, v43, v7, 30
	v_alignbit_b32 v7, v7, v9, 30
	s_delay_alu instid0(VALU_DEP_3) | instskip(NEXT) | instid1(VALU_DEP_3)
	v_cndmask_b32_e32 v15, 33, v46, vcc_lo
	v_xor_b32_e32 v9, v43, v45
	s_delay_alu instid0(VALU_DEP_3) | instskip(NEXT) | instid1(VALU_DEP_3)
	v_xor_b32_e32 v7, v7, v45
	v_sub_nc_u32_e32 v43, 32, v15
	s_delay_alu instid0(VALU_DEP_1) | instskip(NEXT) | instid1(VALU_DEP_3)
	v_alignbit_b32 v45, v47, v9, v43
	v_alignbit_b32 v7, v9, v7, v43
	v_lshrrev_b32_e32 v9, 29, v0
	s_delay_alu instid0(VALU_DEP_2) | instskip(NEXT) | instid1(VALU_DEP_2)
	v_alignbit_b32 v43, v45, v7, 9
	v_lshlrev_b32_e32 v9, 31, v9
	v_alignbit_b32 v45, v15, v45, 9
	s_delay_alu instid0(VALU_DEP_3) | instskip(NEXT) | instid1(VALU_DEP_2)
	v_clz_i32_u32_e32 v46, v43
	v_or_b32_e32 v45, v45, v9
	v_or_b32_e32 v9, 0x33800000, v9
	s_delay_alu instid0(VALU_DEP_3) | instskip(NEXT) | instid1(VALU_DEP_3)
	v_min_u32_e32 v46, 32, v46
	v_xor_b32_e32 v45, 1.0, v45
	s_delay_alu instid0(VALU_DEP_2) | instskip(SKIP_1) | instid1(VALU_DEP_3)
	v_sub_nc_u32_e32 v47, 31, v46
	v_add_lshl_u32 v15, v46, v15, 23
	v_mul_f32_e32 v46, 0x3fc90fda, v45
	s_delay_alu instid0(VALU_DEP_3) | instskip(NEXT) | instid1(VALU_DEP_3)
	v_alignbit_b32 v7, v43, v7, v47
	v_sub_nc_u32_e32 v9, v9, v15
	s_delay_alu instid0(VALU_DEP_3) | instskip(NEXT) | instid1(VALU_DEP_3)
	v_fma_f32 v15, 0x3fc90fda, v45, -v46
	v_lshrrev_b32_e32 v7, 9, v7
	s_delay_alu instid0(VALU_DEP_2) | instskip(NEXT) | instid1(VALU_DEP_2)
	v_fmac_f32_e32 v15, 0x33a22168, v45
	v_or_b32_e32 v7, v9, v7
	s_delay_alu instid0(VALU_DEP_1) | instskip(SKIP_1) | instid1(VALU_DEP_2)
	v_fmac_f32_e32 v15, 0x3fc90fda, v7
	v_lshrrev_b32_e32 v7, 30, v0
	v_add_f32_e32 v0, v46, v15
	s_delay_alu instid0(VALU_DEP_2)
	v_add_nc_u32_e32 v7, v44, v7
.LBB14_34:                              ;   in Loop: Header=BB14_9 Depth=1
	s_and_not1_saveexec_b32 s0, s22
; %bb.35:                               ;   in Loop: Header=BB14_9 Depth=1
	v_mul_f32_e64 v0, 0x3f22f983, |v5|
	s_delay_alu instid0(VALU_DEP_1) | instskip(NEXT) | instid1(VALU_DEP_1)
	v_rndne_f32_e32 v7, v0
	v_fma_f32 v0, 0xbfc90fda, v7, |v5|
	s_delay_alu instid0(VALU_DEP_1) | instskip(NEXT) | instid1(VALU_DEP_1)
	v_fmac_f32_e32 v0, 0xb3a22168, v7
	v_fmac_f32_e32 v0, 0xa7c234c4, v7
	v_cvt_i32_f32_e32 v7, v7
; %bb.36:                               ;   in Loop: Header=BB14_9 Depth=1
	s_or_b32 exec_lo, exec_lo, s0
	s_delay_alu instid0(VALU_DEP_2) | instskip(NEXT) | instid1(VALU_DEP_2)
	v_mul_f32_e32 v9, v0, v0
	v_and_b32_e32 v7, 1, v7
	s_delay_alu instid0(VALU_DEP_2) | instskip(SKIP_1) | instid1(VALU_DEP_3)
	v_fmaak_f32 v15, s19, v9, 0xbf039337
	v_fmaak_f32 v43, s15, v9, 0x3ec54587
	v_cmp_eq_u32_e32 vcc_lo, 0, v7
	s_delay_alu instid0(VALU_DEP_3) | instskip(NEXT) | instid1(VALU_DEP_1)
	v_fmaak_f32 v15, v9, v15, 0x3f93f425
	v_rcp_f32_e32 v15, v15
	s_waitcnt_depctr 0xfff
	v_mul_f32_e32 v15, v43, v15
	s_delay_alu instid0(VALU_DEP_1) | instskip(NEXT) | instid1(VALU_DEP_1)
	v_mul_f32_e32 v9, v9, v15
	v_fma_f32 v15, v9, v0, v0
	s_delay_alu instid0(VALU_DEP_1) | instskip(SKIP_1) | instid1(VALU_DEP_1)
	v_rcp_f32_e32 v43, v15
	v_sub_f32_e32 v44, v15, v0
	v_fma_f32 v0, v9, v0, -v44
	s_waitcnt_depctr 0xfff
	v_fma_f32 v9, v15, -v43, 1.0
	s_delay_alu instid0(VALU_DEP_1) | instskip(NEXT) | instid1(VALU_DEP_1)
	v_fma_f32 v0, v0, -v43, v9
	v_fma_f32 v0, v0, -v43, -v43
	s_delay_alu instid0(VALU_DEP_1) | instskip(SKIP_1) | instid1(VALU_DEP_2)
	v_cndmask_b32_e32 v0, v0, v15, vcc_lo
	v_cmp_class_f32_e64 vcc_lo, v5, 0x1f8
	v_xor3_b32 v0, v6, v5, v0
	v_add_nc_u32_e32 v6, s20, v40
	s_delay_alu instid0(VALU_DEP_2) | instskip(NEXT) | instid1(VALU_DEP_2)
	v_cndmask_b32_e32 v0, 0x7fc00000, v0, vcc_lo
	v_ashrrev_i32_e32 v7, 31, v6
	s_delay_alu instid0(VALU_DEP_2) | instskip(NEXT) | instid1(VALU_DEP_1)
	v_fma_f32 v0, s10, v0, s9
	v_bfe_u32 v5, v0, 16, 1
	s_delay_alu instid0(VALU_DEP_1) | instskip(NEXT) | instid1(VALU_DEP_1)
	v_add3_u32 v5, v0, v5, 0x7fff
	v_lshrrev_b32_e32 v9, 16, v5
	v_add_co_u32 v5, vcc_lo, s12, v6
	v_add_co_ci_u32_e32 v6, vcc_lo, s13, v7, vcc_lo
	v_cmp_o_f32_e32 vcc_lo, v0, v0
	s_delay_alu instid0(VALU_DEP_4)
	v_cndmask_b32_e32 v0, 0x7fc0, v9, vcc_lo
	global_store_b16 v[5:6], v0, off
.LBB14_37:                              ;   in Loop: Header=BB14_9 Depth=1
	s_or_b32 exec_lo, exec_lo, s21
	v_add_co_u32 v5, vcc_lo, s17, v12
	v_add_co_ci_u32_e32 v6, vcc_lo, 0, v13, vcc_lo
	s_mov_b32 s21, exec_lo
	s_delay_alu instid0(VALU_DEP_1)
	v_cmpx_gt_i64_e64 s[4:5], v[5:6]
	s_cbranch_execz .LBB14_8
; %bb.38:                               ;   in Loop: Header=BB14_9 Depth=1
	v_cvt_f32_u32_e32 v0, v8
                                        ; implicit-def: $vgpr7
	s_mov_b32 s1, exec_lo
	s_delay_alu instid0(VALU_DEP_1) | instskip(NEXT) | instid1(VALU_DEP_1)
	v_fmaak_f32 v0, 0x2f800000, v0, 0x2f800000
	v_cmp_nlt_f32_e32 vcc_lo, 0x3f7ffffe, v0
	v_cndmask_b32_e32 v0, 0x3f7ffffe, v0, vcc_lo
	s_delay_alu instid0(VALU_DEP_1) | instskip(SKIP_1) | instid1(VALU_DEP_1)
	v_cmp_ngt_f32_e32 vcc_lo, 0x34000000, v0
	v_cndmask_b32_e32 v0, 0x34000000, v0, vcc_lo
	v_add_f32_e32 v0, -0.5, v0
	s_delay_alu instid0(VALU_DEP_1) | instskip(NEXT) | instid1(VALU_DEP_1)
	v_mul_f32_e32 v5, 0x40490fdb, v0
                                        ; implicit-def: $vgpr0
	v_and_b32_e32 v6, 0x7fffffff, v5
	v_cmpx_ngt_f32_e64 0x48000000, |v5|
	s_xor_b32 s22, exec_lo, s1
	s_cbranch_execz .LBB14_40
; %bb.39:                               ;   in Loop: Header=BB14_9 Depth=1
	s_delay_alu instid0(VALU_DEP_2) | instskip(NEXT) | instid1(VALU_DEP_1)
	v_and_or_b32 v15, v6, s18, 0x800000
	v_mad_u64_u32 v[7:8], null, 0xfe5163ab, v15, 0
	s_delay_alu instid0(VALU_DEP_1) | instskip(NEXT) | instid1(VALU_DEP_1)
	v_mov_b32_e32 v0, v8
	v_mad_u64_u32 v[8:9], null, 0x3c439041, v15, v[0:1]
	s_delay_alu instid0(VALU_DEP_1) | instskip(SKIP_1) | instid1(VALU_DEP_1)
	v_mov_b32_e32 v0, v9
	v_lshrrev_b32_e32 v9, 23, v6
	v_add_nc_u32_e32 v9, 0xffffff88, v9
	s_delay_alu instid0(VALU_DEP_1) | instskip(SKIP_1) | instid1(VALU_DEP_1)
	v_cmp_lt_u32_e32 vcc_lo, 63, v9
	v_cndmask_b32_e64 v47, 0, 0xffffffc0, vcc_lo
	v_add_nc_u32_e32 v9, v47, v9
	v_mad_u64_u32 v[43:44], null, 0xdb629599, v15, v[0:1]
	s_delay_alu instid0(VALU_DEP_2) | instskip(NEXT) | instid1(VALU_DEP_2)
	v_cmp_lt_u32_e64 s0, 31, v9
	v_mov_b32_e32 v0, v44
	s_delay_alu instid0(VALU_DEP_2) | instskip(NEXT) | instid1(VALU_DEP_4)
	v_cndmask_b32_e64 v48, 0, 0xffffffe0, s0
	v_cndmask_b32_e32 v7, v43, v7, vcc_lo
	s_delay_alu instid0(VALU_DEP_3) | instskip(NEXT) | instid1(VALU_DEP_3)
	v_mad_u64_u32 v[44:45], null, 0xf534ddc0, v15, v[0:1]
	v_add_nc_u32_e32 v9, v48, v9
	s_delay_alu instid0(VALU_DEP_1) | instskip(NEXT) | instid1(VALU_DEP_3)
	v_cmp_lt_u32_e64 s1, 31, v9
	v_mov_b32_e32 v0, v45
	s_delay_alu instid0(VALU_DEP_4) | instskip(NEXT) | instid1(VALU_DEP_2)
	v_cndmask_b32_e32 v8, v44, v8, vcc_lo
	v_mad_u64_u32 v[45:46], null, 0xfc2757d1, v15, v[0:1]
	s_delay_alu instid0(VALU_DEP_2) | instskip(NEXT) | instid1(VALU_DEP_2)
	v_cndmask_b32_e64 v7, v8, v7, s0
	v_mov_b32_e32 v0, v46
	s_delay_alu instid0(VALU_DEP_1) | instskip(NEXT) | instid1(VALU_DEP_1)
	v_mad_u64_u32 v[46:47], null, 0x4e441529, v15, v[0:1]
	v_mov_b32_e32 v0, v47
	s_delay_alu instid0(VALU_DEP_1) | instskip(SKIP_1) | instid1(VALU_DEP_1)
	v_mad_u64_u32 v[47:48], null, 0xa2f9836e, v15, v[0:1]
	v_cndmask_b32_e64 v0, 0, 0xffffffe0, s1
	v_dual_cndmask_b32 v15, v46, v44 :: v_dual_add_nc_u32 v0, v0, v9
	s_delay_alu instid0(VALU_DEP_3) | instskip(SKIP_1) | instid1(VALU_DEP_3)
	v_dual_cndmask_b32 v47, v47, v45 :: v_dual_cndmask_b32 v46, v48, v46
	v_cndmask_b32_e32 v45, v45, v43, vcc_lo
	v_cmp_eq_u32_e64 s2, 0, v0
	s_delay_alu instid0(VALU_DEP_3) | instskip(NEXT) | instid1(VALU_DEP_4)
	v_cndmask_b32_e64 v9, v47, v15, s0
	v_cndmask_b32_e64 v44, v46, v47, s0
	s_delay_alu instid0(VALU_DEP_4) | instskip(SKIP_2) | instid1(VALU_DEP_4)
	v_cndmask_b32_e64 v15, v15, v45, s0
	v_sub_nc_u32_e32 v46, 32, v0
	v_cndmask_b32_e64 v45, v45, v8, s0
	v_cndmask_b32_e64 v44, v44, v9, s1
	s_delay_alu instid0(VALU_DEP_4) | instskip(NEXT) | instid1(VALU_DEP_3)
	v_cndmask_b32_e64 v9, v9, v15, s1
	v_cndmask_b32_e64 v15, v15, v45, s1
	;; [unrolled: 1-line block ×3, first 2 shown]
	s_delay_alu instid0(VALU_DEP_3) | instskip(NEXT) | instid1(VALU_DEP_3)
	v_alignbit_b32 v47, v44, v9, v46
	v_alignbit_b32 v48, v9, v15, v46
	s_delay_alu instid0(VALU_DEP_3) | instskip(NEXT) | instid1(VALU_DEP_3)
	v_alignbit_b32 v46, v15, v7, v46
	v_cndmask_b32_e64 v0, v47, v44, s2
	s_delay_alu instid0(VALU_DEP_3) | instskip(NEXT) | instid1(VALU_DEP_3)
	v_cndmask_b32_e64 v9, v48, v9, s2
	v_cndmask_b32_e64 v15, v46, v15, s2
	s_delay_alu instid0(VALU_DEP_3) | instskip(NEXT) | instid1(VALU_DEP_3)
	v_bfe_u32 v43, v0, 29, 1
	v_alignbit_b32 v8, v0, v9, 30
	s_delay_alu instid0(VALU_DEP_3) | instskip(SKIP_1) | instid1(VALU_DEP_4)
	v_alignbit_b32 v9, v9, v15, 30
	v_alignbit_b32 v7, v15, v7, 30
	v_sub_nc_u32_e32 v44, 0, v43
	s_delay_alu instid0(VALU_DEP_1) | instskip(SKIP_3) | instid1(VALU_DEP_4)
	v_xor_b32_e32 v45, v8, v44
	v_cmp_ne_u32_e32 vcc_lo, v8, v44
	v_xor_b32_e32 v9, v9, v44
	v_xor_b32_e32 v7, v7, v44
	v_clz_i32_u32_e32 v47, v45
	s_delay_alu instid0(VALU_DEP_1) | instskip(NEXT) | instid1(VALU_DEP_1)
	v_add_nc_u32_e32 v46, 1, v47
	v_cndmask_b32_e32 v8, 33, v46, vcc_lo
	s_delay_alu instid0(VALU_DEP_1) | instskip(NEXT) | instid1(VALU_DEP_1)
	v_sub_nc_u32_e32 v15, 32, v8
	v_alignbit_b32 v44, v45, v9, v15
	v_alignbit_b32 v7, v9, v7, v15
	v_lshrrev_b32_e32 v9, 29, v0
	s_delay_alu instid0(VALU_DEP_2) | instskip(NEXT) | instid1(VALU_DEP_2)
	v_alignbit_b32 v15, v44, v7, 9
	v_lshlrev_b32_e32 v9, 31, v9
	v_alignbit_b32 v44, v8, v44, 9
	s_delay_alu instid0(VALU_DEP_3) | instskip(NEXT) | instid1(VALU_DEP_2)
	v_clz_i32_u32_e32 v45, v15
	v_or_b32_e32 v44, v44, v9
	v_or_b32_e32 v9, 0x33800000, v9
	s_delay_alu instid0(VALU_DEP_3) | instskip(NEXT) | instid1(VALU_DEP_3)
	v_min_u32_e32 v45, 32, v45
	v_xor_b32_e32 v44, 1.0, v44
	s_delay_alu instid0(VALU_DEP_2) | instskip(SKIP_1) | instid1(VALU_DEP_3)
	v_sub_nc_u32_e32 v46, 31, v45
	v_add_lshl_u32 v8, v45, v8, 23
	v_mul_f32_e32 v45, 0x3fc90fda, v44
	s_delay_alu instid0(VALU_DEP_3) | instskip(NEXT) | instid1(VALU_DEP_3)
	v_alignbit_b32 v7, v15, v7, v46
	v_sub_nc_u32_e32 v8, v9, v8
	s_delay_alu instid0(VALU_DEP_3) | instskip(NEXT) | instid1(VALU_DEP_3)
	v_fma_f32 v9, 0x3fc90fda, v44, -v45
	v_lshrrev_b32_e32 v7, 9, v7
	s_delay_alu instid0(VALU_DEP_2) | instskip(NEXT) | instid1(VALU_DEP_2)
	v_fmac_f32_e32 v9, 0x33a22168, v44
	v_or_b32_e32 v7, v8, v7
	s_delay_alu instid0(VALU_DEP_1) | instskip(SKIP_1) | instid1(VALU_DEP_1)
	v_fmac_f32_e32 v9, 0x3fc90fda, v7
	v_lshrrev_b32_e32 v7, 30, v0
	v_dual_add_f32 v0, v45, v9 :: v_dual_add_nc_u32 v7, v43, v7
.LBB14_40:                              ;   in Loop: Header=BB14_9 Depth=1
	s_and_not1_saveexec_b32 s0, s22
	s_cbranch_execz .LBB14_7
; %bb.41:                               ;   in Loop: Header=BB14_9 Depth=1
	v_mul_f32_e64 v0, 0x3f22f983, |v5|
	s_delay_alu instid0(VALU_DEP_1) | instskip(NEXT) | instid1(VALU_DEP_1)
	v_rndne_f32_e32 v7, v0
	v_fma_f32 v0, 0xbfc90fda, v7, |v5|
	s_delay_alu instid0(VALU_DEP_1) | instskip(NEXT) | instid1(VALU_DEP_1)
	v_fmac_f32_e32 v0, 0xb3a22168, v7
	v_fmac_f32_e32 v0, 0xa7c234c4, v7
	v_cvt_i32_f32_e32 v7, v7
	s_branch .LBB14_7
.LBB14_42:
	s_endpgm
.LBB14_43:
                                        ; implicit-def: $sgpr2_sgpr3
	s_branch .LBB14_4
	.section	.rodata,"a",@progbits
	.p2align	6, 0x0
	.amdhsa_kernel _ZN2at6native12_GLOBAL__N_143distribution_elementwise_grid_stride_kernelIfLi4EZNS0_9templates4cuda21uniform_and_transformIN3c108BFloat16EfPNS_17CUDAGeneratorImplEZZZNS4_13cauchy_kernelIS9_EEvRNS_18TensorIteratorBaseEddT_ENKUlvE_clEvENKUlvE2_clEvEUlfE_EEvSC_T1_T2_EUlP25hiprandStatePhilox4_32_10E0_ZNS1_27distribution_nullary_kernelIS7_f15HIP_vector_typeIfLj4EES9_SL_SG_EEvSC_SI_RKT3_T4_EUlifE_EEvlNS_15PhiloxCudaStateESH_SI_
		.amdhsa_group_segment_fixed_size 0
		.amdhsa_private_segment_fixed_size 0
		.amdhsa_kernarg_size 328
		.amdhsa_user_sgpr_count 15
		.amdhsa_user_sgpr_dispatch_ptr 0
		.amdhsa_user_sgpr_queue_ptr 0
		.amdhsa_user_sgpr_kernarg_segment_ptr 1
		.amdhsa_user_sgpr_dispatch_id 0
		.amdhsa_user_sgpr_private_segment_size 0
		.amdhsa_wavefront_size32 1
		.amdhsa_uses_dynamic_stack 0
		.amdhsa_enable_private_segment 0
		.amdhsa_system_sgpr_workgroup_id_x 1
		.amdhsa_system_sgpr_workgroup_id_y 0
		.amdhsa_system_sgpr_workgroup_id_z 0
		.amdhsa_system_sgpr_workgroup_info 0
		.amdhsa_system_vgpr_workitem_id 0
		.amdhsa_next_free_vgpr 52
		.amdhsa_next_free_sgpr 23
		.amdhsa_reserve_vcc 1
		.amdhsa_float_round_mode_32 0
		.amdhsa_float_round_mode_16_64 0
		.amdhsa_float_denorm_mode_32 3
		.amdhsa_float_denorm_mode_16_64 3
		.amdhsa_dx10_clamp 1
		.amdhsa_ieee_mode 1
		.amdhsa_fp16_overflow 0
		.amdhsa_workgroup_processor_mode 1
		.amdhsa_memory_ordered 1
		.amdhsa_forward_progress 0
		.amdhsa_shared_vgpr_count 0
		.amdhsa_exception_fp_ieee_invalid_op 0
		.amdhsa_exception_fp_denorm_src 0
		.amdhsa_exception_fp_ieee_div_zero 0
		.amdhsa_exception_fp_ieee_overflow 0
		.amdhsa_exception_fp_ieee_underflow 0
		.amdhsa_exception_fp_ieee_inexact 0
		.amdhsa_exception_int_div_zero 0
	.end_amdhsa_kernel
	.section	.text._ZN2at6native12_GLOBAL__N_143distribution_elementwise_grid_stride_kernelIfLi4EZNS0_9templates4cuda21uniform_and_transformIN3c108BFloat16EfPNS_17CUDAGeneratorImplEZZZNS4_13cauchy_kernelIS9_EEvRNS_18TensorIteratorBaseEddT_ENKUlvE_clEvENKUlvE2_clEvEUlfE_EEvSC_T1_T2_EUlP25hiprandStatePhilox4_32_10E0_ZNS1_27distribution_nullary_kernelIS7_f15HIP_vector_typeIfLj4EES9_SL_SG_EEvSC_SI_RKT3_T4_EUlifE_EEvlNS_15PhiloxCudaStateESH_SI_,"axG",@progbits,_ZN2at6native12_GLOBAL__N_143distribution_elementwise_grid_stride_kernelIfLi4EZNS0_9templates4cuda21uniform_and_transformIN3c108BFloat16EfPNS_17CUDAGeneratorImplEZZZNS4_13cauchy_kernelIS9_EEvRNS_18TensorIteratorBaseEddT_ENKUlvE_clEvENKUlvE2_clEvEUlfE_EEvSC_T1_T2_EUlP25hiprandStatePhilox4_32_10E0_ZNS1_27distribution_nullary_kernelIS7_f15HIP_vector_typeIfLj4EES9_SL_SG_EEvSC_SI_RKT3_T4_EUlifE_EEvlNS_15PhiloxCudaStateESH_SI_,comdat
.Lfunc_end14:
	.size	_ZN2at6native12_GLOBAL__N_143distribution_elementwise_grid_stride_kernelIfLi4EZNS0_9templates4cuda21uniform_and_transformIN3c108BFloat16EfPNS_17CUDAGeneratorImplEZZZNS4_13cauchy_kernelIS9_EEvRNS_18TensorIteratorBaseEddT_ENKUlvE_clEvENKUlvE2_clEvEUlfE_EEvSC_T1_T2_EUlP25hiprandStatePhilox4_32_10E0_ZNS1_27distribution_nullary_kernelIS7_f15HIP_vector_typeIfLj4EES9_SL_SG_EEvSC_SI_RKT3_T4_EUlifE_EEvlNS_15PhiloxCudaStateESH_SI_, .Lfunc_end14-_ZN2at6native12_GLOBAL__N_143distribution_elementwise_grid_stride_kernelIfLi4EZNS0_9templates4cuda21uniform_and_transformIN3c108BFloat16EfPNS_17CUDAGeneratorImplEZZZNS4_13cauchy_kernelIS9_EEvRNS_18TensorIteratorBaseEddT_ENKUlvE_clEvENKUlvE2_clEvEUlfE_EEvSC_T1_T2_EUlP25hiprandStatePhilox4_32_10E0_ZNS1_27distribution_nullary_kernelIS7_f15HIP_vector_typeIfLj4EES9_SL_SG_EEvSC_SI_RKT3_T4_EUlifE_EEvlNS_15PhiloxCudaStateESH_SI_
                                        ; -- End function
	.section	.AMDGPU.csdata,"",@progbits
; Kernel info:
; codeLenInByte = 7144
; NumSgprs: 25
; NumVgprs: 52
; ScratchSize: 0
; MemoryBound: 0
; FloatMode: 240
; IeeeMode: 1
; LDSByteSize: 0 bytes/workgroup (compile time only)
; SGPRBlocks: 3
; VGPRBlocks: 6
; NumSGPRsForWavesPerEU: 25
; NumVGPRsForWavesPerEU: 52
; Occupancy: 16
; WaveLimiterHint : 0
; COMPUTE_PGM_RSRC2:SCRATCH_EN: 0
; COMPUTE_PGM_RSRC2:USER_SGPR: 15
; COMPUTE_PGM_RSRC2:TRAP_HANDLER: 0
; COMPUTE_PGM_RSRC2:TGID_X_EN: 1
; COMPUTE_PGM_RSRC2:TGID_Y_EN: 0
; COMPUTE_PGM_RSRC2:TGID_Z_EN: 0
; COMPUTE_PGM_RSRC2:TIDIG_COMP_CNT: 0
	.section	.text._ZN2at6native12_GLOBAL__N_143distribution_elementwise_grid_stride_kernelIfLi4EZNS0_9templates4cuda21uniform_and_transformIN3c108BFloat16EfPNS_17CUDAGeneratorImplEZZZNS4_13cauchy_kernelIS9_EEvRNS_18TensorIteratorBaseEddT_ENKUlvE_clEvENKUlvE2_clEvEUlfE_EEvSC_T1_T2_EUlP25hiprandStatePhilox4_32_10E0_ZNS1_27distribution_nullary_kernelIS7_f15HIP_vector_typeIfLj4EES9_SL_SG_EEvSC_SI_RKT3_T4_EUlifE0_EEvlNS_15PhiloxCudaStateESH_SI_,"axG",@progbits,_ZN2at6native12_GLOBAL__N_143distribution_elementwise_grid_stride_kernelIfLi4EZNS0_9templates4cuda21uniform_and_transformIN3c108BFloat16EfPNS_17CUDAGeneratorImplEZZZNS4_13cauchy_kernelIS9_EEvRNS_18TensorIteratorBaseEddT_ENKUlvE_clEvENKUlvE2_clEvEUlfE_EEvSC_T1_T2_EUlP25hiprandStatePhilox4_32_10E0_ZNS1_27distribution_nullary_kernelIS7_f15HIP_vector_typeIfLj4EES9_SL_SG_EEvSC_SI_RKT3_T4_EUlifE0_EEvlNS_15PhiloxCudaStateESH_SI_,comdat
	.globl	_ZN2at6native12_GLOBAL__N_143distribution_elementwise_grid_stride_kernelIfLi4EZNS0_9templates4cuda21uniform_and_transformIN3c108BFloat16EfPNS_17CUDAGeneratorImplEZZZNS4_13cauchy_kernelIS9_EEvRNS_18TensorIteratorBaseEddT_ENKUlvE_clEvENKUlvE2_clEvEUlfE_EEvSC_T1_T2_EUlP25hiprandStatePhilox4_32_10E0_ZNS1_27distribution_nullary_kernelIS7_f15HIP_vector_typeIfLj4EES9_SL_SG_EEvSC_SI_RKT3_T4_EUlifE0_EEvlNS_15PhiloxCudaStateESH_SI_ ; -- Begin function _ZN2at6native12_GLOBAL__N_143distribution_elementwise_grid_stride_kernelIfLi4EZNS0_9templates4cuda21uniform_and_transformIN3c108BFloat16EfPNS_17CUDAGeneratorImplEZZZNS4_13cauchy_kernelIS9_EEvRNS_18TensorIteratorBaseEddT_ENKUlvE_clEvENKUlvE2_clEvEUlfE_EEvSC_T1_T2_EUlP25hiprandStatePhilox4_32_10E0_ZNS1_27distribution_nullary_kernelIS7_f15HIP_vector_typeIfLj4EES9_SL_SG_EEvSC_SI_RKT3_T4_EUlifE0_EEvlNS_15PhiloxCudaStateESH_SI_
	.p2align	8
	.type	_ZN2at6native12_GLOBAL__N_143distribution_elementwise_grid_stride_kernelIfLi4EZNS0_9templates4cuda21uniform_and_transformIN3c108BFloat16EfPNS_17CUDAGeneratorImplEZZZNS4_13cauchy_kernelIS9_EEvRNS_18TensorIteratorBaseEddT_ENKUlvE_clEvENKUlvE2_clEvEUlfE_EEvSC_T1_T2_EUlP25hiprandStatePhilox4_32_10E0_ZNS1_27distribution_nullary_kernelIS7_f15HIP_vector_typeIfLj4EES9_SL_SG_EEvSC_SI_RKT3_T4_EUlifE0_EEvlNS_15PhiloxCudaStateESH_SI_,@function
_ZN2at6native12_GLOBAL__N_143distribution_elementwise_grid_stride_kernelIfLi4EZNS0_9templates4cuda21uniform_and_transformIN3c108BFloat16EfPNS_17CUDAGeneratorImplEZZZNS4_13cauchy_kernelIS9_EEvRNS_18TensorIteratorBaseEddT_ENKUlvE_clEvENKUlvE2_clEvEUlfE_EEvSC_T1_T2_EUlP25hiprandStatePhilox4_32_10E0_ZNS1_27distribution_nullary_kernelIS7_f15HIP_vector_typeIfLj4EES9_SL_SG_EEvSC_SI_RKT3_T4_EUlifE0_EEvlNS_15PhiloxCudaStateESH_SI_: ; @_ZN2at6native12_GLOBAL__N_143distribution_elementwise_grid_stride_kernelIfLi4EZNS0_9templates4cuda21uniform_and_transformIN3c108BFloat16EfPNS_17CUDAGeneratorImplEZZZNS4_13cauchy_kernelIS9_EEvRNS_18TensorIteratorBaseEddT_ENKUlvE_clEvENKUlvE2_clEvEUlfE_EEvSC_T1_T2_EUlP25hiprandStatePhilox4_32_10E0_ZNS1_27distribution_nullary_kernelIS7_f15HIP_vector_typeIfLj4EES9_SL_SG_EEvSC_SI_RKT3_T4_EUlifE0_EEvlNS_15PhiloxCudaStateESH_SI_
; %bb.0:
	s_clause 0x2
	s_load_b64 s[4:5], s[0:1], 0x10
	s_load_b128 s[16:19], s[0:1], 0x0
	s_load_b32 s2, s[0:1], 0x20
	s_waitcnt lgkmcnt(0)
	v_dual_mov_b32 v2, s4 :: v_dual_mov_b32 v3, s5
	v_dual_mov_b32 v10, s18 :: v_dual_mov_b32 v11, s19
	s_bitcmp0_b32 s2, 0
	s_mov_b32 s2, 0
	s_cbranch_scc1 .LBB15_2
; %bb.1:
	v_dual_mov_b32 v1, s4 :: v_dual_mov_b32 v2, s5
	v_dual_mov_b32 v4, s18 :: v_dual_mov_b32 v5, s19
	s_load_b64 s[4:5], s[0:1], 0x18
	flat_load_b64 v[2:3], v[1:2]
	flat_load_b64 v[10:11], v[4:5]
	s_waitcnt vmcnt(1) lgkmcnt(0)
	v_add_co_u32 v2, vcc_lo, v2, s4
	v_add_co_ci_u32_e32 v3, vcc_lo, s5, v3, vcc_lo
.LBB15_2:
	s_clause 0x1
	s_load_b32 s3, s[0:1], 0x154
	s_load_b32 s4, s[0:1], 0x148
	s_waitcnt lgkmcnt(0)
	s_and_b32 s5, s3, 0xffff
	s_add_u32 s6, s16, -1
	s_mul_i32 s26, s4, s5
	s_addc_u32 s3, s17, -1
	s_lshl_b32 s27, s26, 2
	s_cmp_lg_u64 s[2:3], 0
	s_cbranch_scc0 .LBB15_95
; %bb.3:
	v_cvt_f32_ubyte0_e32 v1, 0
	v_cvt_f32_u32_e32 v4, s27
	s_sub_u32 s8, 0, s27
	s_subb_u32 s9, 0, 0
	s_delay_alu instid0(VALU_DEP_1) | instskip(NEXT) | instid1(VALU_DEP_1)
	v_fmamk_f32 v1, v1, 0x4f800000, v4
	v_rcp_f32_e32 v1, v1
	s_waitcnt_depctr 0xfff
	v_mul_f32_e32 v1, 0x5f7ffffc, v1
	s_delay_alu instid0(VALU_DEP_1) | instskip(NEXT) | instid1(VALU_DEP_1)
	v_mul_f32_e32 v4, 0x2f800000, v1
	v_trunc_f32_e32 v4, v4
	s_delay_alu instid0(VALU_DEP_1) | instskip(SKIP_1) | instid1(VALU_DEP_2)
	v_fmamk_f32 v1, v4, 0xcf800000, v1
	v_cvt_u32_f32_e32 v4, v4
	v_cvt_u32_f32_e32 v1, v1
	s_delay_alu instid0(VALU_DEP_2) | instskip(NEXT) | instid1(VALU_DEP_2)
	v_readfirstlane_b32 s2, v4
	v_readfirstlane_b32 s7, v1
	s_delay_alu instid0(VALU_DEP_2) | instskip(NEXT) | instid1(VALU_DEP_1)
	s_mul_i32 s10, s8, s2
	s_mul_hi_u32 s12, s8, s7
	s_mul_i32 s11, s9, s7
	s_add_i32 s10, s12, s10
	s_mul_i32 s13, s8, s7
	s_add_i32 s10, s10, s11
	s_mul_hi_u32 s12, s7, s13
	s_mul_hi_u32 s14, s2, s13
	s_mul_i32 s11, s2, s13
	s_mul_hi_u32 s13, s7, s10
	s_mul_i32 s7, s7, s10
	s_mul_hi_u32 s18, s2, s10
	s_add_u32 s7, s12, s7
	s_addc_u32 s12, 0, s13
	s_add_u32 s7, s7, s11
	s_mul_i32 s10, s2, s10
	s_addc_u32 s7, s12, s14
	s_addc_u32 s11, s18, 0
	s_add_u32 s7, s7, s10
	s_addc_u32 s10, 0, s11
	v_add_co_u32 v1, s7, v1, s7
	s_delay_alu instid0(VALU_DEP_1) | instskip(SKIP_1) | instid1(VALU_DEP_1)
	s_cmp_lg_u32 s7, 0
	s_addc_u32 s2, s2, s10
	v_readfirstlane_b32 s7, v1
	s_mul_i32 s10, s8, s2
	s_delay_alu instid0(VALU_DEP_1)
	s_mul_hi_u32 s11, s8, s7
	s_mul_i32 s9, s9, s7
	s_add_i32 s10, s11, s10
	s_mul_i32 s8, s8, s7
	s_add_i32 s10, s10, s9
	s_mul_hi_u32 s11, s2, s8
	s_mul_i32 s12, s2, s8
	s_mul_hi_u32 s8, s7, s8
	s_mul_hi_u32 s13, s7, s10
	s_mul_i32 s7, s7, s10
	s_mul_hi_u32 s9, s2, s10
	s_add_u32 s7, s8, s7
	s_addc_u32 s8, 0, s13
	s_add_u32 s7, s7, s12
	s_mul_i32 s10, s2, s10
	s_addc_u32 s7, s8, s11
	s_addc_u32 s8, s9, 0
	s_add_u32 s7, s7, s10
	s_addc_u32 s8, 0, s8
	v_add_co_u32 v1, s7, v1, s7
	s_delay_alu instid0(VALU_DEP_1) | instskip(SKIP_2) | instid1(VALU_DEP_1)
	s_cmp_lg_u32 s7, 0
	s_addc_u32 s7, s2, s8
	s_ashr_i32 s8, s3, 31
	v_readfirstlane_b32 s10, v1
	s_add_u32 s2, s6, s8
	s_mov_b32 s9, s8
	s_addc_u32 s3, s3, s8
	s_delay_alu instid0(SALU_CYCLE_1) | instskip(NEXT) | instid1(SALU_CYCLE_1)
	s_xor_b64 s[2:3], s[2:3], s[8:9]
	s_mul_i32 s12, s2, s7
	s_mul_hi_u32 s13, s2, s10
	s_mul_hi_u32 s11, s2, s7
	;; [unrolled: 1-line block ×3, first 2 shown]
	s_mul_i32 s10, s3, s10
	s_add_u32 s12, s13, s12
	s_addc_u32 s11, 0, s11
	s_mul_hi_u32 s14, s3, s7
	s_add_u32 s10, s12, s10
	s_mul_i32 s7, s3, s7
	s_addc_u32 s10, s11, s18
	s_addc_u32 s11, s14, 0
	s_add_u32 s7, s10, s7
	s_addc_u32 s10, 0, s11
	s_mul_i32 s12, s27, s7
	s_add_u32 s11, s7, 1
	v_sub_co_u32 v1, s2, s2, s12
	s_mul_hi_u32 s12, s27, s7
	s_addc_u32 s13, s10, 0
	s_mul_i32 s14, s27, s10
	s_delay_alu instid0(VALU_DEP_1)
	v_sub_co_u32 v4, s18, v1, s27
	s_add_u32 s19, s7, 2
	s_addc_u32 s20, s10, 0
	s_add_i32 s12, s12, s14
	s_cmp_lg_u32 s2, 0
	v_readfirstlane_b32 s2, v4
	s_subb_u32 s3, s3, s12
	s_cmp_lg_u32 s18, 0
	s_subb_u32 s12, s3, 0
	s_delay_alu instid0(VALU_DEP_1) | instskip(SKIP_4) | instid1(SALU_CYCLE_1)
	s_cmp_ge_u32 s2, s27
	s_cselect_b32 s2, -1, 0
	s_cmp_eq_u32 s12, 0
	v_readfirstlane_b32 s12, v1
	s_cselect_b32 s2, s2, -1
	s_cmp_lg_u32 s2, 0
	s_cselect_b32 s2, s19, s11
	s_cselect_b32 s11, s20, s13
	s_cmp_ge_u32 s12, s27
	s_cselect_b32 s12, -1, 0
	s_cmp_eq_u32 s3, 0
	s_cselect_b32 s3, s12, -1
	s_delay_alu instid0(SALU_CYCLE_1) | instskip(SKIP_2) | instid1(SALU_CYCLE_1)
	s_cmp_lg_u32 s3, 0
	s_cselect_b32 s3, s11, s10
	s_cselect_b32 s2, s2, s7
	s_xor_b64 s[2:3], s[2:3], s[8:9]
	s_delay_alu instid0(SALU_CYCLE_1)
	s_sub_u32 s2, s2, s8
	s_subb_u32 s3, s3, s8
	s_cbranch_execnz .LBB15_5
.LBB15_4:
	v_cvt_f32_u32_e32 v1, s27
	s_sub_i32 s3, 0, s27
	s_delay_alu instid0(VALU_DEP_1) | instskip(SKIP_2) | instid1(VALU_DEP_1)
	v_rcp_iflag_f32_e32 v1, v1
	s_waitcnt_depctr 0xfff
	v_mul_f32_e32 v1, 0x4f7ffffe, v1
	v_cvt_u32_f32_e32 v1, v1
	s_delay_alu instid0(VALU_DEP_1) | instskip(NEXT) | instid1(VALU_DEP_1)
	v_readfirstlane_b32 s2, v1
	s_mul_i32 s3, s3, s2
	s_delay_alu instid0(SALU_CYCLE_1) | instskip(NEXT) | instid1(SALU_CYCLE_1)
	s_mul_hi_u32 s3, s2, s3
	s_add_i32 s2, s2, s3
	s_delay_alu instid0(SALU_CYCLE_1) | instskip(NEXT) | instid1(SALU_CYCLE_1)
	s_mul_hi_u32 s2, s6, s2
	s_mul_i32 s3, s2, s27
	s_delay_alu instid0(SALU_CYCLE_1)
	s_sub_i32 s3, s6, s3
	s_add_i32 s6, s2, 1
	s_sub_i32 s7, s3, s27
	s_cmp_ge_u32 s3, s27
	s_cselect_b32 s2, s6, s2
	s_cselect_b32 s3, s7, s3
	s_add_i32 s6, s2, 1
	s_cmp_ge_u32 s3, s27
	s_mov_b32 s3, 0
	s_cselect_b32 s2, s6, s2
.LBB15_5:
	v_mov_b32_e32 v1, 0
	s_add_u32 s2, s2, 1
	s_addc_u32 s3, s3, 0
	s_mul_hi_u32 s6, s26, s2
	s_mul_i32 s3, s26, s3
	v_mad_u64_u32 v[12:13], null, s5, s15, v[0:1]
	s_mul_hi_u32 s4, s4, s5
	s_add_i32 s3, s6, s3
	s_mul_i32 s4, s4, s2
	s_mul_i32 s2, s26, s2
	s_add_i32 s3, s3, s4
	s_delay_alu instid0(SALU_CYCLE_1)
	s_lshl_b64 s[18:19], s[2:3], 2
	s_mov_b32 s2, exec_lo
	v_cmpx_gt_i64_e64 s[18:19], v[12:13]
	s_cbranch_execz .LBB15_94
; %bb.6:
	v_alignbit_b32 v17, v3, v2, 2
	v_mad_u64_u32 v[6:7], null, 0xcd9e8d57, v12, 0
	v_lshrrev_b32_e32 v18, 2, v3
	s_waitcnt vmcnt(0)
	v_dual_mov_b32 v16, v11 :: v_dual_add_nc_u32 v27, 0x96a522ad, v11
	v_mad_u64_u32 v[4:5], null, 0xd2511f53, v17, 0
	v_add_co_u32 v20, null, 0x9e3779b9, v10
	v_xor3_b32 v3, v10, v7, v18
	s_delay_alu instid0(VALU_DEP_4) | instskip(SKIP_2) | instid1(VALU_DEP_4)
	v_add_co_u32 v19, null, 0xbb67ae85, v16
	v_add_co_u32 v21, null, 0x3c6ef372, v10
	v_xor_b32_e32 v0, v5, v11
	v_mad_u64_u32 v[7:8], null, 0xd2511f53, v3, 0
	v_add_co_u32 v22, null, 0x76cf5d0a, v16
	s_delay_alu instid0(VALU_DEP_3) | instskip(SKIP_2) | instid1(VALU_DEP_3)
	v_xor_b32_e32 v0, v0, v13
	v_add_co_u32 v23, null, 0x32370b8f, v16
	v_add_co_u32 v25, null, 0xdaa66d2b, v10
	v_mad_u64_u32 v[14:15], null, 0xcd9e8d57, v0, 0
	v_xor3_b32 v0, v19, v8, v4
	v_and_b32_e32 v24, 3, v2
	v_add_co_u32 v28, null, 0x78dde6e4, v10
	v_add_co_u32 v30, null, 0xed9eba14, v16
	v_xor3_b32 v8, v20, v15, v6
	v_mad_u64_u32 v[3:4], null, 0xcd9e8d57, v0, 0
	v_add_co_u32 v31, null, 0x1715609d, v10
	s_delay_alu instid0(VALU_DEP_3) | instskip(SKIP_1) | instid1(VALU_DEP_4)
	v_mad_u64_u32 v[5:6], null, 0xd2511f53, v8, 0
	v_add_co_u32 v32, null, 0xa9066899, v16
	v_xor3_b32 v0, v21, v4, v14
	v_add_co_u32 v33, null, 0xb54cda56, v10
	v_add_co_u32 v35, null, 0x646e171e, v16
	v_xor3_b32 v4, v22, v6, v7
	s_delay_alu instid0(VALU_DEP_4) | instskip(SKIP_2) | instid1(VALU_DEP_3)
	v_mad_u64_u32 v[6:7], null, 0xd2511f53, v0, 0
	s_load_b256 s[4:11], s[0:1], 0x30
	v_add_co_u32 v29, null, 0x5384540f, v10
	v_mad_u64_u32 v[8:9], null, 0xcd9e8d57, v4, 0
	v_add_co_u32 v36, null, 0x1fd5c5a3, v16
	s_delay_alu instid0(VALU_DEP_4) | instskip(SKIP_3) | instid1(VALU_DEP_4)
	v_xor3_b32 v0, v23, v7, v5
	v_add_co_u32 v34, null, 0xf1bbcdc8, v10
	v_add_co_u32 v37, null, 0xdb3d7428, v16
	v_xor3_b32 v7, v25, v9, v3
	v_mad_u64_u32 v[2:3], null, 0xcd9e8d57, v0, 0
	s_add_u32 s20, s0, 48
	s_clause 0x1
	s_load_b64 s[22:23], s[0:1], 0xf4
	s_load_b128 s[12:15], s[0:1], 0x138
	v_mad_u64_u32 v[4:5], null, 0xd2511f53, v7, 0
	s_addc_u32 s21, s1, 0
	s_waitcnt lgkmcnt(0)
	s_add_i32 s2, s4, -1
	v_xor3_b32 v0, v28, v3, v8
	s_cmp_gt_u32 s2, 1
	v_add_nc_u32_e32 v26, 0x8ff34781, v10
	s_cselect_b32 s11, -1, 0
	v_xor3_b32 v3, v30, v5, v6
	v_mad_u64_u32 v[5:6], null, 0xd2511f53, v0, 0
	s_cmp_lg_u32 s4, 0
	v_mov_b32_e32 v38, v12
	s_delay_alu instid0(VALU_DEP_3) | instskip(SKIP_2) | instid1(VALU_DEP_3)
	v_mad_u64_u32 v[7:8], null, 0xcd9e8d57, v3, 0
	s_cselect_b32 s30, -1, 0
	s_add_u32 s24, s0, 0xf4
	v_xor3_b32 v0, v32, v6, v4
	s_addc_u32 s25, s1, 0
	s_min_u32 s0, s2, 15
	s_cmp_gt_u32 s4, 1
	s_delay_alu instid0(VALU_DEP_2) | instskip(SKIP_3) | instid1(VALU_DEP_2)
	v_xor3_b32 v4, v31, v8, v2
	v_mad_u64_u32 v[2:3], null, 0xcd9e8d57, v0, 0
	s_cselect_b32 s4, -1, 0
	s_add_i32 s0, s0, 1
	v_mad_u64_u32 v[8:9], null, 0xd2511f53, v4, 0
	s_lshl_b32 s31, s26, 1
	s_and_b32 s33, s0, 3
	s_delay_alu instid0(VALU_DEP_2) | instskip(SKIP_3) | instid1(VALU_DEP_2)
	v_xor3_b32 v0, v33, v3, v7
	s_cmp_lg_u32 s2, 2
	s_mov_b32 s28, 0
	s_cselect_b32 s34, -1, 0
	v_xor3_b32 v7, v35, v9, v5
	v_mad_u64_u32 v[3:4], null, 0xd2511f53, v0, 0
	s_and_b32 s35, s0, 28
	s_cmp_lg_u32 s33, 0
	s_delay_alu instid0(VALU_DEP_2) | instskip(SKIP_2) | instid1(VALU_DEP_2)
	v_mad_u64_u32 v[5:6], null, 0xcd9e8d57, v7, 0
	s_mul_i32 s29, s26, 3
	s_cselect_b32 s36, -1, 0
	v_xor3_b32 v0, v36, v4, v8
	s_mov_b32 s37, 0x7fffff
	s_mov_b32 s38, 0xbc8cedd3
	;; [unrolled: 1-line block ×3, first 2 shown]
	s_delay_alu instid0(VALU_DEP_2) | instskip(SKIP_1) | instid1(VALU_DEP_2)
	v_xor3_b32 v2, v29, v6, v2
	v_mad_u64_u32 v[14:15], null, 0xcd9e8d57, v0, 0
	v_mad_u64_u32 v[39:40], null, 0xd2511f53, v2, 0
	s_delay_alu instid0(VALU_DEP_2) | instskip(NEXT) | instid1(VALU_DEP_2)
	v_xor3_b32 v0, v34, v15, v5
	v_xor3_b32 v4, v37, v40, v3
	s_delay_alu instid0(VALU_DEP_2) | instskip(NEXT) | instid1(VALU_DEP_2)
	v_mad_u64_u32 v[2:3], null, 0xd2511f53, v0, 0
	v_mad_u64_u32 v[6:7], null, 0xcd9e8d57, v4, 0
	s_delay_alu instid0(VALU_DEP_2) | instskip(NEXT) | instid1(VALU_DEP_2)
	v_mov_b32_e32 v8, v2
	v_xor3_b32 v5, v7, v14, v26
	s_delay_alu instid0(VALU_DEP_4)
	v_xor3_b32 v7, v3, v39, v27
	v_mov_b32_e32 v39, v13
	s_branch .LBB15_9
.LBB15_7:                               ;   in Loop: Header=BB15_9 Depth=1
	s_or_b32 exec_lo, exec_lo, s0
	s_delay_alu instid0(VALU_DEP_2) | instskip(NEXT) | instid1(VALU_DEP_1)
	v_mul_f32_e32 v9, v0, v0
	v_dual_fmaak_f32 v15, s39, v9, 0xbf039337 :: v_dual_and_b32 v8, 1, v8
	v_fmaak_f32 v16, s38, v9, 0x3ec54587
	s_delay_alu instid0(VALU_DEP_2) | instskip(NEXT) | instid1(VALU_DEP_3)
	v_cmp_eq_u32_e32 vcc_lo, 0, v8
	v_fmaak_f32 v15, v9, v15, 0x3f93f425
	s_delay_alu instid0(VALU_DEP_1) | instskip(SKIP_2) | instid1(VALU_DEP_1)
	v_rcp_f32_e32 v15, v15
	s_waitcnt_depctr 0xfff
	v_mul_f32_e32 v15, v16, v15
	v_mul_f32_e32 v9, v9, v15
	s_delay_alu instid0(VALU_DEP_1) | instskip(NEXT) | instid1(VALU_DEP_1)
	v_fma_f32 v15, v9, v0, v0
	v_rcp_f32_e32 v16, v15
	v_sub_f32_e32 v40, v15, v0
	s_delay_alu instid0(VALU_DEP_1) | instskip(SKIP_2) | instid1(VALU_DEP_1)
	v_fma_f32 v0, v9, v0, -v40
	s_waitcnt_depctr 0xfff
	v_fma_f32 v9, v15, -v16, 1.0
	v_fma_f32 v0, v0, -v16, v9
	s_delay_alu instid0(VALU_DEP_1) | instskip(NEXT) | instid1(VALU_DEP_1)
	v_fma_f32 v0, v0, -v16, -v16
	v_cndmask_b32_e32 v0, v0, v15, vcc_lo
	v_cmp_class_f32_e64 vcc_lo, v6, 0x1f8
	s_delay_alu instid0(VALU_DEP_2) | instskip(NEXT) | instid1(VALU_DEP_1)
	v_xor3_b32 v0, v7, v6, v0
	v_cndmask_b32_e32 v0, 0x7fc00000, v0, vcc_lo
	s_delay_alu instid0(VALU_DEP_1) | instskip(NEXT) | instid1(VALU_DEP_1)
	v_fma_f32 v0, s15, v0, s14
	v_bfe_u32 v6, v0, 16, 1
	v_cmp_o_f32_e32 vcc_lo, v0, v0
	s_delay_alu instid0(VALU_DEP_2) | instskip(NEXT) | instid1(VALU_DEP_1)
	v_add3_u32 v6, v0, v6, 0x7fff
	v_lshrrev_b32_e32 v6, 16, v6
	s_delay_alu instid0(VALU_DEP_1)
	v_cndmask_b32_e32 v0, 0x7fc0, v6, vcc_lo
	global_store_b16 v5, v0, s[12:13]
.LBB15_8:                               ;   in Loop: Header=BB15_9 Depth=1
	s_or_b32 exec_lo, exec_lo, s40
	v_add_co_u32 v12, vcc_lo, v12, s27
	v_add_co_ci_u32_e32 v13, vcc_lo, 0, v13, vcc_lo
	v_mov_b32_e32 v5, v14
	s_waitcnt_vscnt null, 0x0
	s_barrier
	s_delay_alu instid0(VALU_DEP_2)
	v_cmp_le_i64_e32 vcc_lo, s[18:19], v[12:13]
	buffer_gl0_inv
	v_mov_b32_e32 v8, v5
	v_dual_mov_b32 v7, v4 :: v_dual_mov_b32 v6, v3
	v_mov_b32_e32 v5, v2
	s_or_b32 s28, vcc_lo, s28
	s_delay_alu instid0(SALU_CYCLE_1)
	s_and_not1_b32 exec_lo, exec_lo, s28
	s_cbranch_execz .LBB15_94
.LBB15_9:                               ; =>This Loop Header: Depth=1
                                        ;     Child Loop BB15_24 Depth 2
                                        ;     Child Loop BB15_29 Depth 2
	;; [unrolled: 1-line block ×8, first 2 shown]
	v_add_co_u32 v17, vcc_lo, v17, 1
	s_delay_alu instid0(VALU_DEP_1) | instskip(SKIP_1) | instid1(VALU_DEP_3)
	v_cndmask_b32_e64 v0, 0, 1, vcc_lo
	v_add_co_ci_u32_e32 v18, vcc_lo, 0, v18, vcc_lo
	v_mad_u64_u32 v[2:3], null, 0xd2511f53, v17, 0
	s_mov_b32 s0, exec_lo
	s_delay_alu instid0(VALU_DEP_2) | instskip(SKIP_1) | instid1(VALU_DEP_1)
	v_cmp_eq_u32_e32 vcc_lo, 0, v18
	v_cndmask_b32_e32 v0, 0, v0, vcc_lo
	v_add_nc_u32_e32 v38, v0, v38
	s_delay_alu instid0(VALU_DEP_1) | instskip(SKIP_2) | instid1(VALU_DEP_2)
	v_cmp_eq_u32_e32 vcc_lo, 0, v38
	v_mad_u64_u32 v[14:15], null, 0xcd9e8d57, v38, 0
	v_cndmask_b32_e32 v0, 0, v0, vcc_lo
	v_xor3_b32 v9, v15, v10, v18
	s_delay_alu instid0(VALU_DEP_2) | instskip(SKIP_1) | instid1(VALU_DEP_3)
	v_add_nc_u32_e32 v39, v0, v39
	v_xor_b32_e32 v0, v3, v11
	v_mad_u64_u32 v[3:4], null, 0xd2511f53, v9, 0
	s_delay_alu instid0(VALU_DEP_2) | instskip(NEXT) | instid1(VALU_DEP_1)
	v_xor_b32_e32 v0, v39, v0
	v_mad_u64_u32 v[15:16], null, 0xcd9e8d57, v0, 0
	s_delay_alu instid0(VALU_DEP_3) | instskip(NEXT) | instid1(VALU_DEP_1)
	v_xor3_b32 v0, v19, v4, v2
	v_mad_u64_u32 v[40:41], null, 0xcd9e8d57, v0, 0
	s_delay_alu instid0(VALU_DEP_3) | instskip(NEXT) | instid1(VALU_DEP_1)
	v_xor3_b32 v2, v20, v16, v14
	v_mad_u64_u32 v[42:43], null, 0xd2511f53, v2, 0
	s_delay_alu instid0(VALU_DEP_3) | instskip(NEXT) | instid1(VALU_DEP_2)
	v_xor3_b32 v0, v21, v41, v15
	v_xor3_b32 v4, v22, v43, v3
	s_delay_alu instid0(VALU_DEP_2) | instskip(NEXT) | instid1(VALU_DEP_2)
	v_mad_u64_u32 v[2:3], null, 0xd2511f53, v0, 0
	v_mad_u64_u32 v[14:15], null, 0xcd9e8d57, v4, 0
	s_delay_alu instid0(VALU_DEP_2) | instskip(NEXT) | instid1(VALU_DEP_2)
	v_xor3_b32 v0, v23, v3, v42
	v_xor3_b32 v9, v25, v15, v40
	s_delay_alu instid0(VALU_DEP_2) | instskip(NEXT) | instid1(VALU_DEP_2)
	v_mad_u64_u32 v[3:4], null, 0xcd9e8d57, v0, 0
	v_mad_u64_u32 v[15:16], null, 0xd2511f53, v9, 0
	s_delay_alu instid0(VALU_DEP_2) | instskip(NEXT) | instid1(VALU_DEP_2)
	;; [unrolled: 6-line block ×7, first 2 shown]
	v_xor3_b32 v9, v15, v42, v27
	v_xor3_b32 v2, v4, v40, v26
	s_delay_alu instid0(VALU_DEP_2)
	v_mov_b32_e32 v4, v9
	v_cmpx_lt_i32_e32 1, v24
	s_xor_b32 s0, exec_lo, s0
	s_cbranch_execnz .LBB15_12
; %bb.10:                               ;   in Loop: Header=BB15_9 Depth=1
	s_and_not1_saveexec_b32 s0, s0
	s_cbranch_execnz .LBB15_17
.LBB15_11:                              ;   in Loop: Header=BB15_9 Depth=1
	s_or_b32 exec_lo, exec_lo, s0
	s_delay_alu instid0(SALU_CYCLE_1)
	s_mov_b32 s40, exec_lo
	v_cmpx_gt_i64_e64 s[16:17], v[12:13]
	s_cbranch_execnz .LBB15_20
	s_branch .LBB15_38
.LBB15_12:                              ;   in Loop: Header=BB15_9 Depth=1
	s_mov_b32 s1, exec_lo
	v_cmpx_lt_i32_e32 2, v24
	s_xor_b32 s1, exec_lo, s1
; %bb.13:                               ;   in Loop: Header=BB15_9 Depth=1
	v_dual_mov_b32 v6, v8 :: v_dual_mov_b32 v7, v2
	v_mov_b32_e32 v8, v3
	s_delay_alu instid0(VALU_DEP_2) | instskip(NEXT) | instid1(VALU_DEP_3)
	v_mov_b32_e32 v5, v6
	v_mov_b32_e32 v6, v7
	s_delay_alu instid0(VALU_DEP_3)
	v_mov_b32_e32 v7, v8
	v_mov_b32_e32 v8, v9
; %bb.14:                               ;   in Loop: Header=BB15_9 Depth=1
	s_and_not1_saveexec_b32 s1, s1
; %bb.15:                               ;   in Loop: Header=BB15_9 Depth=1
	s_delay_alu instid0(VALU_DEP_1)
	v_dual_mov_b32 v5, v7 :: v_dual_mov_b32 v6, v8
	v_dual_mov_b32 v7, v2 :: v_dual_mov_b32 v8, v3
; %bb.16:                               ;   in Loop: Header=BB15_9 Depth=1
	s_or_b32 exec_lo, exec_lo, s1
	s_and_not1_saveexec_b32 s0, s0
	s_cbranch_execz .LBB15_11
.LBB15_17:                              ;   in Loop: Header=BB15_9 Depth=1
	s_mov_b32 s1, exec_lo
	v_cmpx_eq_u32_e32 1, v24
; %bb.18:                               ;   in Loop: Header=BB15_9 Depth=1
	v_dual_mov_b32 v5, v6 :: v_dual_mov_b32 v6, v7
	v_dual_mov_b32 v7, v8 :: v_dual_mov_b32 v8, v2
; %bb.19:                               ;   in Loop: Header=BB15_9 Depth=1
	s_or_b32 exec_lo, exec_lo, s1
	s_delay_alu instid0(SALU_CYCLE_1) | instskip(NEXT) | instid1(SALU_CYCLE_1)
	s_or_b32 exec_lo, exec_lo, s0
	s_mov_b32 s40, exec_lo
	v_cmpx_gt_i64_e64 s[16:17], v[12:13]
	s_cbranch_execz .LBB15_38
.LBB15_20:                              ;   in Loop: Header=BB15_9 Depth=1
	s_and_not1_b32 vcc_lo, exec_lo, s11
	s_cbranch_vccnz .LBB15_26
; %bb.21:                               ;   in Loop: Header=BB15_9 Depth=1
	v_mov_b32_e32 v9, 0
	s_and_not1_b32 vcc_lo, exec_lo, s30
	s_cbranch_vccnz .LBB15_30
; %bb.22:                               ;   in Loop: Header=BB15_9 Depth=1
	s_and_not1_b32 vcc_lo, exec_lo, s34
	s_mov_b32 s0, 0
	s_cbranch_vccnz .LBB15_27
; %bb.23:                               ;   in Loop: Header=BB15_9 Depth=1
	v_dual_mov_b32 v9, 0 :: v_dual_mov_b32 v0, v12
	s_mov_b32 s41, 0
	s_mov_b64 s[0:1], s[20:21]
	s_mov_b64 s[2:3], s[24:25]
.LBB15_24:                              ;   Parent Loop BB15_9 Depth=1
                                        ; =>  This Inner Loop Header: Depth=2
	s_clause 0x1
	s_load_b256 s[44:51], s[0:1], 0x4
	s_load_b128 s[52:55], s[0:1], 0x24
	s_load_b128 s[56:59], s[2:3], 0x0
	s_add_u32 s0, s0, 48
	s_addc_u32 s1, s1, 0
	s_add_i32 s41, s41, 4
	s_add_u32 s2, s2, 16
	s_addc_u32 s3, s3, 0
	s_cmp_lg_u32 s35, s41
	s_waitcnt lgkmcnt(0)
	v_mul_hi_u32 v15, s45, v0
	s_delay_alu instid0(VALU_DEP_1) | instskip(NEXT) | instid1(VALU_DEP_1)
	v_add_nc_u32_e32 v15, v0, v15
	v_lshrrev_b32_e32 v15, s46, v15
	s_delay_alu instid0(VALU_DEP_1) | instskip(SKIP_1) | instid1(VALU_DEP_2)
	v_mul_hi_u32 v16, s48, v15
	v_mul_lo_u32 v42, v15, s44
	v_add_nc_u32_e32 v16, v15, v16
	s_delay_alu instid0(VALU_DEP_2) | instskip(NEXT) | instid1(VALU_DEP_2)
	v_sub_nc_u32_e32 v42, v0, v42
	v_lshrrev_b32_e32 v16, s49, v16
	s_delay_alu instid0(VALU_DEP_2) | instskip(NEXT) | instid1(VALU_DEP_2)
	v_mul_lo_u32 v42, v42, s56
	v_mul_hi_u32 v40, s51, v16
	v_mul_lo_u32 v43, v16, s47
	s_delay_alu instid0(VALU_DEP_2) | instskip(NEXT) | instid1(VALU_DEP_2)
	v_add_nc_u32_e32 v40, v16, v40
	v_sub_nc_u32_e32 v15, v15, v43
	s_delay_alu instid0(VALU_DEP_2) | instskip(NEXT) | instid1(VALU_DEP_2)
	v_lshrrev_b32_e32 v40, s52, v40
	v_mul_lo_u32 v15, v15, s57
	s_delay_alu instid0(VALU_DEP_2) | instskip(NEXT) | instid1(VALU_DEP_2)
	v_mul_hi_u32 v41, s54, v40
	v_add3_u32 v9, v42, v9, v15
	s_delay_alu instid0(VALU_DEP_2) | instskip(NEXT) | instid1(VALU_DEP_1)
	v_add_nc_u32_e32 v41, v40, v41
	v_lshrrev_b32_e32 v0, s55, v41
	v_mul_lo_u32 v41, v40, s50
	s_delay_alu instid0(VALU_DEP_2) | instskip(NEXT) | instid1(VALU_DEP_2)
	v_mul_lo_u32 v44, v0, s53
	v_sub_nc_u32_e32 v16, v16, v41
	s_delay_alu instid0(VALU_DEP_2) | instskip(NEXT) | instid1(VALU_DEP_2)
	v_sub_nc_u32_e32 v40, v40, v44
	v_mul_lo_u32 v16, v16, s58
	s_delay_alu instid0(VALU_DEP_2) | instskip(NEXT) | instid1(VALU_DEP_1)
	v_mul_lo_u32 v40, v40, s59
	v_add3_u32 v9, v16, v9, v40
	s_cbranch_scc1 .LBB15_24
; %bb.25:                               ;   in Loop: Header=BB15_9 Depth=1
	s_mov_b32 s0, s35
	s_and_not1_b32 vcc_lo, exec_lo, s36
	s_cbranch_vccz .LBB15_28
	s_branch .LBB15_30
.LBB15_26:                              ;   in Loop: Header=BB15_9 Depth=1
                                        ; implicit-def: $vgpr9
	s_branch .LBB15_31
.LBB15_27:                              ;   in Loop: Header=BB15_9 Depth=1
	v_mov_b32_e32 v0, v12
	s_and_not1_b32 vcc_lo, exec_lo, s36
	s_cbranch_vccnz .LBB15_30
.LBB15_28:                              ;   in Loop: Header=BB15_9 Depth=1
	s_lshl_b32 s1, s0, 2
	s_mul_i32 s2, s0, 12
	s_add_u32 s0, s24, s1
	s_addc_u32 s1, s25, 0
	s_add_u32 s2, s20, s2
	s_addc_u32 s3, s21, 0
	s_mov_b32 s41, s33
	.p2align	6
.LBB15_29:                              ;   Parent Loop BB15_9 Depth=1
                                        ; =>  This Inner Loop Header: Depth=2
	s_clause 0x1
	s_load_b64 s[42:43], s[2:3], 0x4
	s_load_b32 s44, s[2:3], 0xc
	s_add_u32 s2, s2, 12
	s_addc_u32 s3, s3, 0
	s_waitcnt lgkmcnt(0)
	v_mul_hi_u32 v15, s43, v0
	s_load_b32 s43, s[0:1], 0x0
	s_add_u32 s0, s0, 4
	s_addc_u32 s1, s1, 0
	s_add_i32 s41, s41, -1
	s_delay_alu instid0(SALU_CYCLE_1) | instskip(NEXT) | instid1(VALU_DEP_1)
	s_cmp_lg_u32 s41, 0
	v_add_nc_u32_e32 v15, v0, v15
	s_delay_alu instid0(VALU_DEP_1) | instskip(NEXT) | instid1(VALU_DEP_1)
	v_lshrrev_b32_e32 v40, s44, v15
	v_mul_lo_u32 v15, v40, s42
	s_delay_alu instid0(VALU_DEP_1) | instskip(SKIP_1) | instid1(VALU_DEP_1)
	v_sub_nc_u32_e32 v0, v0, v15
	s_waitcnt lgkmcnt(0)
	v_mad_u64_u32 v[15:16], null, v0, s43, v[9:10]
	s_delay_alu instid0(VALU_DEP_1)
	v_dual_mov_b32 v0, v40 :: v_dual_mov_b32 v9, v15
	s_cbranch_scc1 .LBB15_29
.LBB15_30:                              ;   in Loop: Header=BB15_9 Depth=1
	s_cbranch_execnz .LBB15_33
.LBB15_31:                              ;   in Loop: Header=BB15_9 Depth=1
	v_mul_hi_u32 v0, v12, s6
	s_and_not1_b32 vcc_lo, exec_lo, s4
	s_delay_alu instid0(VALU_DEP_1) | instskip(NEXT) | instid1(VALU_DEP_1)
	v_add_nc_u32_e32 v0, v0, v12
	v_lshrrev_b32_e32 v0, s7, v0
	s_delay_alu instid0(VALU_DEP_1) | instskip(NEXT) | instid1(VALU_DEP_1)
	v_mul_lo_u32 v9, v0, s5
	v_sub_nc_u32_e32 v9, v12, v9
	s_delay_alu instid0(VALU_DEP_1)
	v_mul_lo_u32 v9, v9, s22
	s_cbranch_vccnz .LBB15_33
; %bb.32:                               ;   in Loop: Header=BB15_9 Depth=1
	v_mul_hi_u32 v15, s9, v0
	s_delay_alu instid0(VALU_DEP_1) | instskip(NEXT) | instid1(VALU_DEP_1)
	v_add_nc_u32_e32 v15, v0, v15
	v_lshrrev_b32_e32 v15, s10, v15
	s_delay_alu instid0(VALU_DEP_1) | instskip(NEXT) | instid1(VALU_DEP_1)
	v_mul_lo_u32 v15, v15, s8
	v_sub_nc_u32_e32 v0, v0, v15
	s_delay_alu instid0(VALU_DEP_1) | instskip(NEXT) | instid1(VALU_DEP_1)
	v_mad_u64_u32 v[15:16], null, v0, s23, v[9:10]
	v_mov_b32_e32 v9, v15
.LBB15_33:                              ;   in Loop: Header=BB15_9 Depth=1
	v_cvt_f32_u32_e32 v0, v5
                                        ; implicit-def: $vgpr16
	s_mov_b32 s1, exec_lo
	s_delay_alu instid0(VALU_DEP_1) | instskip(NEXT) | instid1(VALU_DEP_1)
	v_fmaak_f32 v0, 0x2f800000, v0, 0x2f800000
	v_cmp_nlt_f32_e32 vcc_lo, 0x3f7ffffe, v0
	v_cndmask_b32_e32 v0, 0x3f7ffffe, v0, vcc_lo
	s_delay_alu instid0(VALU_DEP_1) | instskip(SKIP_1) | instid1(VALU_DEP_1)
	v_cmp_ngt_f32_e32 vcc_lo, 0x34000000, v0
	v_cndmask_b32_e32 v0, 0x34000000, v0, vcc_lo
	v_add_f32_e32 v0, -0.5, v0
	s_delay_alu instid0(VALU_DEP_1) | instskip(NEXT) | instid1(VALU_DEP_1)
	v_mul_f32_e32 v5, 0x40490fdb, v0
                                        ; implicit-def: $vgpr0
	v_and_b32_e32 v15, 0x7fffffff, v5
	v_cmpx_ngt_f32_e64 0x48000000, |v5|
	s_xor_b32 s3, exec_lo, s1
	s_cbranch_execz .LBB15_35
; %bb.34:                               ;   in Loop: Header=BB15_9 Depth=1
	s_delay_alu instid0(VALU_DEP_2) | instskip(SKIP_1) | instid1(VALU_DEP_2)
	v_lshrrev_b32_e32 v45, 23, v15
	v_and_or_b32 v16, v15, s37, 0x800000
	v_add_nc_u32_e32 v46, 0xffffff88, v45
	s_delay_alu instid0(VALU_DEP_2) | instskip(NEXT) | instid1(VALU_DEP_2)
	v_mad_u64_u32 v[40:41], null, 0xfe5163ab, v16, 0
	v_cmp_lt_u32_e32 vcc_lo, 63, v46
	v_cndmask_b32_e64 v47, 0, 0xffffffc0, vcc_lo
	s_delay_alu instid0(VALU_DEP_1) | instskip(NEXT) | instid1(VALU_DEP_1)
	v_dual_mov_b32 v0, v41 :: v_dual_add_nc_u32 v47, v47, v46
	v_mad_u64_u32 v[41:42], null, 0x3c439041, v16, v[0:1]
	s_delay_alu instid0(VALU_DEP_2) | instskip(NEXT) | instid1(VALU_DEP_2)
	v_cmp_lt_u32_e64 s0, 31, v47
	v_mov_b32_e32 v0, v42
	s_delay_alu instid0(VALU_DEP_2) | instskip(NEXT) | instid1(VALU_DEP_2)
	v_cndmask_b32_e64 v48, 0, 0xffffffe0, s0
	v_mad_u64_u32 v[42:43], null, 0xdb629599, v16, v[0:1]
	s_delay_alu instid0(VALU_DEP_2) | instskip(NEXT) | instid1(VALU_DEP_1)
	v_add_nc_u32_e32 v48, v48, v47
	v_cmp_lt_u32_e64 s1, 31, v48
	s_delay_alu instid0(VALU_DEP_3) | instskip(NEXT) | instid1(VALU_DEP_4)
	v_mov_b32_e32 v0, v43
	v_cndmask_b32_e32 v40, v42, v40, vcc_lo
	s_delay_alu instid0(VALU_DEP_2) | instskip(NEXT) | instid1(VALU_DEP_1)
	v_mad_u64_u32 v[43:44], null, 0xf534ddc0, v16, v[0:1]
	v_dual_mov_b32 v0, v44 :: v_dual_cndmask_b32 v41, v43, v41
	s_delay_alu instid0(VALU_DEP_1) | instskip(NEXT) | instid1(VALU_DEP_2)
	v_mad_u64_u32 v[44:45], null, 0xfc2757d1, v16, v[0:1]
	v_cndmask_b32_e64 v40, v41, v40, s0
	s_delay_alu instid0(VALU_DEP_2) | instskip(NEXT) | instid1(VALU_DEP_1)
	v_mov_b32_e32 v0, v45
	v_mad_u64_u32 v[45:46], null, 0x4e441529, v16, v[0:1]
	s_delay_alu instid0(VALU_DEP_1) | instskip(NEXT) | instid1(VALU_DEP_1)
	v_mov_b32_e32 v0, v46
	v_mad_u64_u32 v[46:47], null, 0xa2f9836e, v16, v[0:1]
	v_cndmask_b32_e64 v0, 0, 0xffffffe0, s1
	s_delay_alu instid0(VALU_DEP_4) | instskip(NEXT) | instid1(VALU_DEP_2)
	v_cndmask_b32_e32 v16, v45, v43, vcc_lo
	v_add_nc_u32_e32 v0, v0, v48
	s_delay_alu instid0(VALU_DEP_4) | instskip(SKIP_1) | instid1(VALU_DEP_3)
	v_dual_cndmask_b32 v46, v46, v44 :: v_dual_cndmask_b32 v45, v47, v45
	v_cndmask_b32_e32 v44, v44, v42, vcc_lo
	v_cmp_eq_u32_e64 s2, 0, v0
	s_delay_alu instid0(VALU_DEP_3) | instskip(NEXT) | instid1(VALU_DEP_4)
	v_cndmask_b32_e64 v43, v46, v16, s0
	v_cndmask_b32_e64 v45, v45, v46, s0
	s_delay_alu instid0(VALU_DEP_4) | instskip(SKIP_2) | instid1(VALU_DEP_4)
	v_cndmask_b32_e64 v16, v16, v44, s0
	v_sub_nc_u32_e32 v46, 32, v0
	v_cndmask_b32_e64 v44, v44, v41, s0
	v_cndmask_b32_e64 v45, v45, v43, s1
	s_delay_alu instid0(VALU_DEP_4) | instskip(NEXT) | instid1(VALU_DEP_3)
	v_cndmask_b32_e64 v43, v43, v16, s1
	v_cndmask_b32_e64 v16, v16, v44, s1
	;; [unrolled: 1-line block ×3, first 2 shown]
	s_delay_alu instid0(VALU_DEP_3) | instskip(NEXT) | instid1(VALU_DEP_3)
	v_alignbit_b32 v47, v45, v43, v46
	v_alignbit_b32 v48, v43, v16, v46
	s_delay_alu instid0(VALU_DEP_3) | instskip(NEXT) | instid1(VALU_DEP_3)
	v_alignbit_b32 v46, v16, v40, v46
	v_cndmask_b32_e64 v0, v47, v45, s2
	s_delay_alu instid0(VALU_DEP_3) | instskip(NEXT) | instid1(VALU_DEP_3)
	v_cndmask_b32_e64 v42, v48, v43, s2
	v_cndmask_b32_e64 v16, v46, v16, s2
	s_delay_alu instid0(VALU_DEP_3) | instskip(NEXT) | instid1(VALU_DEP_3)
	v_bfe_u32 v43, v0, 29, 1
	v_alignbit_b32 v41, v0, v42, 30
	s_delay_alu instid0(VALU_DEP_3) | instskip(SKIP_1) | instid1(VALU_DEP_4)
	v_alignbit_b32 v42, v42, v16, 30
	v_alignbit_b32 v16, v16, v40, 30
	v_sub_nc_u32_e32 v45, 0, v43
	s_delay_alu instid0(VALU_DEP_1) | instskip(SKIP_3) | instid1(VALU_DEP_4)
	v_xor_b32_e32 v44, v41, v45
	v_cmp_ne_u32_e32 vcc_lo, v41, v45
	v_xor_b32_e32 v40, v42, v45
	v_xor_b32_e32 v16, v16, v45
	v_clz_i32_u32_e32 v47, v44
	s_delay_alu instid0(VALU_DEP_1) | instskip(NEXT) | instid1(VALU_DEP_1)
	v_add_nc_u32_e32 v46, 1, v47
	v_cndmask_b32_e32 v41, 33, v46, vcc_lo
	s_delay_alu instid0(VALU_DEP_1) | instskip(NEXT) | instid1(VALU_DEP_1)
	v_sub_nc_u32_e32 v42, 32, v41
	v_alignbit_b32 v44, v44, v40, v42
	v_alignbit_b32 v16, v40, v16, v42
	v_lshrrev_b32_e32 v40, 29, v0
	s_delay_alu instid0(VALU_DEP_2) | instskip(NEXT) | instid1(VALU_DEP_2)
	v_alignbit_b32 v42, v44, v16, 9
	v_lshlrev_b32_e32 v40, 31, v40
	v_alignbit_b32 v44, v41, v44, 9
	s_delay_alu instid0(VALU_DEP_3) | instskip(NEXT) | instid1(VALU_DEP_2)
	v_clz_i32_u32_e32 v45, v42
	v_or_b32_e32 v44, v44, v40
	v_or_b32_e32 v40, 0x33800000, v40
	s_delay_alu instid0(VALU_DEP_3) | instskip(NEXT) | instid1(VALU_DEP_3)
	v_min_u32_e32 v45, 32, v45
	v_xor_b32_e32 v44, 1.0, v44
	s_delay_alu instid0(VALU_DEP_2) | instskip(SKIP_1) | instid1(VALU_DEP_3)
	v_sub_nc_u32_e32 v46, 31, v45
	v_add_lshl_u32 v41, v45, v41, 23
	v_mul_f32_e32 v45, 0x3fc90fda, v44
	s_delay_alu instid0(VALU_DEP_3) | instskip(NEXT) | instid1(VALU_DEP_3)
	v_alignbit_b32 v16, v42, v16, v46
	v_sub_nc_u32_e32 v40, v40, v41
	s_delay_alu instid0(VALU_DEP_3) | instskip(NEXT) | instid1(VALU_DEP_3)
	v_fma_f32 v41, 0x3fc90fda, v44, -v45
	v_lshrrev_b32_e32 v16, 9, v16
	s_delay_alu instid0(VALU_DEP_2) | instskip(NEXT) | instid1(VALU_DEP_2)
	v_fmac_f32_e32 v41, 0x33a22168, v44
	v_or_b32_e32 v16, v40, v16
	s_delay_alu instid0(VALU_DEP_1) | instskip(SKIP_1) | instid1(VALU_DEP_2)
	v_fmac_f32_e32 v41, 0x3fc90fda, v16
	v_lshrrev_b32_e32 v16, 30, v0
	v_add_f32_e32 v0, v45, v41
	s_delay_alu instid0(VALU_DEP_2)
	v_add_nc_u32_e32 v16, v43, v16
.LBB15_35:                              ;   in Loop: Header=BB15_9 Depth=1
	s_and_not1_saveexec_b32 s0, s3
; %bb.36:                               ;   in Loop: Header=BB15_9 Depth=1
	v_mul_f32_e64 v0, 0x3f22f983, |v5|
	s_delay_alu instid0(VALU_DEP_1) | instskip(NEXT) | instid1(VALU_DEP_1)
	v_rndne_f32_e32 v16, v0
	v_fma_f32 v0, 0xbfc90fda, v16, |v5|
	s_delay_alu instid0(VALU_DEP_1) | instskip(NEXT) | instid1(VALU_DEP_1)
	v_fmac_f32_e32 v0, 0xb3a22168, v16
	v_fmac_f32_e32 v0, 0xa7c234c4, v16
	v_cvt_i32_f32_e32 v16, v16
; %bb.37:                               ;   in Loop: Header=BB15_9 Depth=1
	s_or_b32 exec_lo, exec_lo, s0
	s_delay_alu instid0(VALU_DEP_2) | instskip(NEXT) | instid1(VALU_DEP_2)
	v_mul_f32_e32 v40, v0, v0
	v_and_b32_e32 v16, 1, v16
	s_delay_alu instid0(VALU_DEP_2) | instskip(SKIP_1) | instid1(VALU_DEP_3)
	v_fmaak_f32 v41, s39, v40, 0xbf039337
	v_fmaak_f32 v42, s38, v40, 0x3ec54587
	v_cmp_eq_u32_e32 vcc_lo, 0, v16
	s_delay_alu instid0(VALU_DEP_3) | instskip(NEXT) | instid1(VALU_DEP_1)
	v_fmaak_f32 v41, v40, v41, 0x3f93f425
	v_rcp_f32_e32 v41, v41
	s_waitcnt_depctr 0xfff
	v_mul_f32_e32 v41, v42, v41
	s_delay_alu instid0(VALU_DEP_1) | instskip(NEXT) | instid1(VALU_DEP_1)
	v_mul_f32_e32 v40, v40, v41
	v_fma_f32 v41, v40, v0, v0
	s_delay_alu instid0(VALU_DEP_1) | instskip(SKIP_1) | instid1(VALU_DEP_1)
	v_sub_f32_e32 v43, v41, v0
	v_rcp_f32_e32 v42, v41
	v_fma_f32 v0, v40, v0, -v43
	s_waitcnt_depctr 0xfff
	v_fma_f32 v40, v41, -v42, 1.0
	s_delay_alu instid0(VALU_DEP_1) | instskip(NEXT) | instid1(VALU_DEP_1)
	v_fma_f32 v0, v0, -v42, v40
	v_fma_f32 v0, v0, -v42, -v42
	s_delay_alu instid0(VALU_DEP_1) | instskip(SKIP_1) | instid1(VALU_DEP_2)
	v_cndmask_b32_e32 v0, v0, v41, vcc_lo
	v_cmp_class_f32_e64 vcc_lo, v5, 0x1f8
	v_xor3_b32 v0, v15, v5, v0
	s_delay_alu instid0(VALU_DEP_1) | instskip(NEXT) | instid1(VALU_DEP_1)
	v_cndmask_b32_e32 v0, 0x7fc00000, v0, vcc_lo
	v_fma_f32 v0, s15, v0, s14
	s_delay_alu instid0(VALU_DEP_1) | instskip(SKIP_1) | instid1(VALU_DEP_2)
	v_bfe_u32 v5, v0, 16, 1
	v_cmp_o_f32_e32 vcc_lo, v0, v0
	v_add3_u32 v5, v0, v5, 0x7fff
	s_delay_alu instid0(VALU_DEP_1) | instskip(NEXT) | instid1(VALU_DEP_1)
	v_lshrrev_b32_e32 v5, 16, v5
	v_cndmask_b32_e32 v0, 0x7fc0, v5, vcc_lo
	global_store_b16 v9, v0, s[12:13]
.LBB15_38:                              ;   in Loop: Header=BB15_9 Depth=1
	s_or_b32 exec_lo, exec_lo, s40
	v_add_co_u32 v15, vcc_lo, v12, s26
	v_add_co_ci_u32_e32 v16, vcc_lo, 0, v13, vcc_lo
	s_mov_b32 s40, exec_lo
	s_delay_alu instid0(VALU_DEP_1)
	v_cmpx_gt_i64_e64 s[16:17], v[15:16]
	s_cbranch_execz .LBB15_57
; %bb.39:                               ;   in Loop: Header=BB15_9 Depth=1
	s_and_not1_b32 vcc_lo, exec_lo, s11
	s_cbranch_vccnz .LBB15_45
; %bb.40:                               ;   in Loop: Header=BB15_9 Depth=1
	v_mov_b32_e32 v5, 0
	s_and_not1_b32 vcc_lo, exec_lo, s30
	s_cbranch_vccnz .LBB15_49
; %bb.41:                               ;   in Loop: Header=BB15_9 Depth=1
	s_and_not1_b32 vcc_lo, exec_lo, s34
	s_mov_b32 s0, 0
	s_cbranch_vccnz .LBB15_46
; %bb.42:                               ;   in Loop: Header=BB15_9 Depth=1
	v_dual_mov_b32 v5, 0 :: v_dual_mov_b32 v0, v15
	s_mov_b32 s41, 0
	s_mov_b64 s[0:1], s[20:21]
	s_mov_b64 s[2:3], s[24:25]
.LBB15_43:                              ;   Parent Loop BB15_9 Depth=1
                                        ; =>  This Inner Loop Header: Depth=2
	s_clause 0x1
	s_load_b256 s[44:51], s[0:1], 0x4
	s_load_b128 s[52:55], s[0:1], 0x24
	s_load_b128 s[56:59], s[2:3], 0x0
	s_add_u32 s0, s0, 48
	s_addc_u32 s1, s1, 0
	s_add_i32 s41, s41, 4
	s_add_u32 s2, s2, 16
	s_addc_u32 s3, s3, 0
	s_cmp_eq_u32 s35, s41
	s_waitcnt lgkmcnt(0)
	v_mul_hi_u32 v9, s45, v0
	s_delay_alu instid0(VALU_DEP_1) | instskip(NEXT) | instid1(VALU_DEP_1)
	v_add_nc_u32_e32 v9, v0, v9
	v_lshrrev_b32_e32 v9, s46, v9
	s_delay_alu instid0(VALU_DEP_1) | instskip(SKIP_1) | instid1(VALU_DEP_2)
	v_mul_hi_u32 v16, s48, v9
	v_mul_lo_u32 v42, v9, s44
	v_add_nc_u32_e32 v16, v9, v16
	s_delay_alu instid0(VALU_DEP_2) | instskip(NEXT) | instid1(VALU_DEP_2)
	v_sub_nc_u32_e32 v42, v0, v42
	v_lshrrev_b32_e32 v16, s49, v16
	s_delay_alu instid0(VALU_DEP_2) | instskip(NEXT) | instid1(VALU_DEP_2)
	v_mul_lo_u32 v42, v42, s56
	v_mul_hi_u32 v40, s51, v16
	v_mul_lo_u32 v43, v16, s47
	s_delay_alu instid0(VALU_DEP_2) | instskip(NEXT) | instid1(VALU_DEP_2)
	v_add_nc_u32_e32 v40, v16, v40
	v_sub_nc_u32_e32 v9, v9, v43
	s_delay_alu instid0(VALU_DEP_2) | instskip(NEXT) | instid1(VALU_DEP_2)
	v_lshrrev_b32_e32 v40, s52, v40
	v_mul_lo_u32 v9, v9, s57
	s_delay_alu instid0(VALU_DEP_2) | instskip(NEXT) | instid1(VALU_DEP_2)
	v_mul_hi_u32 v41, s54, v40
	v_add3_u32 v5, v42, v5, v9
	s_delay_alu instid0(VALU_DEP_2) | instskip(NEXT) | instid1(VALU_DEP_1)
	v_add_nc_u32_e32 v41, v40, v41
	v_lshrrev_b32_e32 v0, s55, v41
	v_mul_lo_u32 v41, v40, s50
	s_delay_alu instid0(VALU_DEP_2) | instskip(NEXT) | instid1(VALU_DEP_2)
	v_mul_lo_u32 v44, v0, s53
	v_sub_nc_u32_e32 v16, v16, v41
	s_delay_alu instid0(VALU_DEP_2) | instskip(NEXT) | instid1(VALU_DEP_2)
	v_sub_nc_u32_e32 v40, v40, v44
	v_mul_lo_u32 v16, v16, s58
	s_delay_alu instid0(VALU_DEP_2) | instskip(NEXT) | instid1(VALU_DEP_1)
	v_mul_lo_u32 v40, v40, s59
	v_add3_u32 v5, v16, v5, v40
	s_cbranch_scc0 .LBB15_43
; %bb.44:                               ;   in Loop: Header=BB15_9 Depth=1
	s_mov_b32 s0, s35
	s_and_not1_b32 vcc_lo, exec_lo, s36
	s_cbranch_vccz .LBB15_47
	s_branch .LBB15_49
.LBB15_45:                              ;   in Loop: Header=BB15_9 Depth=1
                                        ; implicit-def: $vgpr5
	s_branch .LBB15_50
.LBB15_46:                              ;   in Loop: Header=BB15_9 Depth=1
	v_mov_b32_e32 v0, v15
	s_and_not1_b32 vcc_lo, exec_lo, s36
	s_cbranch_vccnz .LBB15_49
.LBB15_47:                              ;   in Loop: Header=BB15_9 Depth=1
	s_lshl_b32 s1, s0, 2
	s_mul_i32 s2, s0, 12
	s_add_u32 s0, s24, s1
	s_addc_u32 s1, s25, 0
	s_add_u32 s2, s20, s2
	s_addc_u32 s3, s21, 0
	s_mov_b32 s41, s33
	.p2align	6
.LBB15_48:                              ;   Parent Loop BB15_9 Depth=1
                                        ; =>  This Inner Loop Header: Depth=2
	s_clause 0x1
	s_load_b64 s[42:43], s[2:3], 0x4
	s_load_b32 s44, s[2:3], 0xc
	s_add_u32 s2, s2, 12
	s_addc_u32 s3, s3, 0
	s_waitcnt lgkmcnt(0)
	v_mul_hi_u32 v9, s43, v0
	s_load_b32 s43, s[0:1], 0x0
	s_add_u32 s0, s0, 4
	s_addc_u32 s1, s1, 0
	s_add_i32 s41, s41, -1
	s_delay_alu instid0(SALU_CYCLE_1) | instskip(NEXT) | instid1(VALU_DEP_1)
	s_cmp_lg_u32 s41, 0
	v_add_nc_u32_e32 v9, v0, v9
	s_delay_alu instid0(VALU_DEP_1) | instskip(NEXT) | instid1(VALU_DEP_1)
	v_lshrrev_b32_e32 v9, s44, v9
	v_mul_lo_u32 v16, v9, s42
	s_delay_alu instid0(VALU_DEP_1) | instskip(SKIP_1) | instid1(VALU_DEP_1)
	v_sub_nc_u32_e32 v0, v0, v16
	s_waitcnt lgkmcnt(0)
	v_mad_u64_u32 v[40:41], null, v0, s43, v[5:6]
	s_delay_alu instid0(VALU_DEP_1)
	v_dual_mov_b32 v0, v9 :: v_dual_mov_b32 v5, v40
	s_cbranch_scc1 .LBB15_48
.LBB15_49:                              ;   in Loop: Header=BB15_9 Depth=1
	s_cbranch_execnz .LBB15_52
.LBB15_50:                              ;   in Loop: Header=BB15_9 Depth=1
	v_mul_hi_u32 v0, v15, s6
	s_and_not1_b32 vcc_lo, exec_lo, s4
	s_delay_alu instid0(VALU_DEP_1) | instskip(NEXT) | instid1(VALU_DEP_1)
	v_add_nc_u32_e32 v0, v0, v15
	v_lshrrev_b32_e32 v0, s7, v0
	s_delay_alu instid0(VALU_DEP_1) | instskip(NEXT) | instid1(VALU_DEP_1)
	v_mul_lo_u32 v5, v0, s5
	v_sub_nc_u32_e32 v5, v15, v5
	s_delay_alu instid0(VALU_DEP_1)
	v_mul_lo_u32 v5, v5, s22
	s_cbranch_vccnz .LBB15_52
; %bb.51:                               ;   in Loop: Header=BB15_9 Depth=1
	v_mul_hi_u32 v9, s9, v0
	s_delay_alu instid0(VALU_DEP_1) | instskip(NEXT) | instid1(VALU_DEP_1)
	v_add_nc_u32_e32 v9, v0, v9
	v_lshrrev_b32_e32 v9, s10, v9
	s_delay_alu instid0(VALU_DEP_1) | instskip(NEXT) | instid1(VALU_DEP_1)
	v_mul_lo_u32 v9, v9, s8
	v_sub_nc_u32_e32 v0, v0, v9
	s_delay_alu instid0(VALU_DEP_1) | instskip(NEXT) | instid1(VALU_DEP_1)
	v_mad_u64_u32 v[15:16], null, v0, s23, v[5:6]
	v_mov_b32_e32 v5, v15
.LBB15_52:                              ;   in Loop: Header=BB15_9 Depth=1
	v_cvt_f32_u32_e32 v0, v6
                                        ; implicit-def: $vgpr15
	s_mov_b32 s1, exec_lo
	s_delay_alu instid0(VALU_DEP_1) | instskip(NEXT) | instid1(VALU_DEP_1)
	v_fmaak_f32 v0, 0x2f800000, v0, 0x2f800000
	v_cmp_nlt_f32_e32 vcc_lo, 0x3f7ffffe, v0
	v_cndmask_b32_e32 v0, 0x3f7ffffe, v0, vcc_lo
	s_delay_alu instid0(VALU_DEP_1) | instskip(SKIP_1) | instid1(VALU_DEP_1)
	v_cmp_ngt_f32_e32 vcc_lo, 0x34000000, v0
	v_cndmask_b32_e32 v0, 0x34000000, v0, vcc_lo
	v_add_f32_e32 v0, -0.5, v0
	s_delay_alu instid0(VALU_DEP_1) | instskip(NEXT) | instid1(VALU_DEP_1)
	v_mul_f32_e32 v6, 0x40490fdb, v0
                                        ; implicit-def: $vgpr0
	v_and_b32_e32 v9, 0x7fffffff, v6
	v_cmpx_ngt_f32_e64 0x48000000, |v6|
	s_xor_b32 s3, exec_lo, s1
	s_cbranch_execz .LBB15_54
; %bb.53:                               ;   in Loop: Header=BB15_9 Depth=1
	s_delay_alu instid0(VALU_DEP_2) | instskip(NEXT) | instid1(VALU_DEP_1)
	v_and_or_b32 v47, v9, s37, 0x800000
	v_mad_u64_u32 v[15:16], null, 0xfe5163ab, v47, 0
	s_delay_alu instid0(VALU_DEP_1) | instskip(SKIP_1) | instid1(VALU_DEP_2)
	v_mov_b32_e32 v0, v16
	v_lshrrev_b32_e32 v16, 23, v9
	v_mad_u64_u32 v[40:41], null, 0x3c439041, v47, v[0:1]
	s_delay_alu instid0(VALU_DEP_2) | instskip(NEXT) | instid1(VALU_DEP_1)
	v_add_nc_u32_e32 v16, 0xffffff88, v16
	v_cmp_lt_u32_e32 vcc_lo, 63, v16
	s_delay_alu instid0(VALU_DEP_3) | instskip(SKIP_1) | instid1(VALU_DEP_2)
	v_mov_b32_e32 v0, v41
	v_cndmask_b32_e64 v45, 0, 0xffffffc0, vcc_lo
	v_mad_u64_u32 v[41:42], null, 0xdb629599, v47, v[0:1]
	s_delay_alu instid0(VALU_DEP_2) | instskip(NEXT) | instid1(VALU_DEP_2)
	v_add_nc_u32_e32 v16, v45, v16
	v_mov_b32_e32 v0, v42
	s_delay_alu instid0(VALU_DEP_2) | instskip(NEXT) | instid1(VALU_DEP_4)
	v_cmp_lt_u32_e64 s0, 31, v16
	v_cndmask_b32_e32 v15, v41, v15, vcc_lo
	s_delay_alu instid0(VALU_DEP_3) | instskip(NEXT) | instid1(VALU_DEP_3)
	v_mad_u64_u32 v[42:43], null, 0xf534ddc0, v47, v[0:1]
	v_cndmask_b32_e64 v46, 0, 0xffffffe0, s0
	s_delay_alu instid0(VALU_DEP_1) | instskip(NEXT) | instid1(VALU_DEP_3)
	v_add_nc_u32_e32 v16, v46, v16
	v_mov_b32_e32 v0, v43
	s_delay_alu instid0(VALU_DEP_2) | instskip(NEXT) | instid1(VALU_DEP_2)
	v_cmp_lt_u32_e64 s1, 31, v16
	v_mad_u64_u32 v[43:44], null, 0xfc2757d1, v47, v[0:1]
	s_delay_alu instid0(VALU_DEP_1) | instskip(NEXT) | instid1(VALU_DEP_1)
	v_mov_b32_e32 v0, v44
	v_mad_u64_u32 v[44:45], null, 0x4e441529, v47, v[0:1]
	s_delay_alu instid0(VALU_DEP_1) | instskip(NEXT) | instid1(VALU_DEP_1)
	v_mov_b32_e32 v0, v45
	v_mad_u64_u32 v[45:46], null, 0xa2f9836e, v47, v[0:1]
	v_cndmask_b32_e64 v0, 0, 0xffffffe0, s1
	s_delay_alu instid0(VALU_DEP_4) | instskip(NEXT) | instid1(VALU_DEP_2)
	v_cndmask_b32_e32 v47, v44, v42, vcc_lo
	v_dual_cndmask_b32 v45, v45, v43 :: v_dual_add_nc_u32 v0, v0, v16
	s_delay_alu instid0(VALU_DEP_4) | instskip(SKIP_1) | instid1(VALU_DEP_3)
	v_dual_cndmask_b32 v44, v46, v44 :: v_dual_cndmask_b32 v43, v43, v41
	v_cndmask_b32_e32 v16, v42, v40, vcc_lo
	v_cmp_eq_u32_e64 s2, 0, v0
	s_delay_alu instid0(VALU_DEP_4) | instskip(NEXT) | instid1(VALU_DEP_4)
	v_cndmask_b32_e64 v40, v45, v47, s0
	v_cndmask_b32_e64 v42, v44, v45, s0
	;; [unrolled: 1-line block ×3, first 2 shown]
	v_sub_nc_u32_e32 v45, 32, v0
	v_cndmask_b32_e64 v43, v43, v16, s0
	v_cndmask_b32_e64 v15, v16, v15, s0
	;; [unrolled: 1-line block ×4, first 2 shown]
	s_delay_alu instid0(VALU_DEP_4) | instskip(NEXT) | instid1(VALU_DEP_4)
	v_cndmask_b32_e64 v44, v44, v43, s1
	v_cndmask_b32_e64 v15, v43, v15, s1
	s_delay_alu instid0(VALU_DEP_3) | instskip(NEXT) | instid1(VALU_DEP_3)
	v_alignbit_b32 v46, v42, v40, v45
	v_alignbit_b32 v47, v40, v44, v45
	s_delay_alu instid0(VALU_DEP_3) | instskip(NEXT) | instid1(VALU_DEP_3)
	v_alignbit_b32 v45, v44, v15, v45
	v_cndmask_b32_e64 v0, v46, v42, s2
	s_delay_alu instid0(VALU_DEP_3) | instskip(NEXT) | instid1(VALU_DEP_3)
	v_cndmask_b32_e64 v40, v47, v40, s2
	v_cndmask_b32_e64 v44, v45, v44, s2
	s_delay_alu instid0(VALU_DEP_3) | instskip(NEXT) | instid1(VALU_DEP_3)
	v_bfe_u32 v41, v0, 29, 1
	v_alignbit_b32 v16, v0, v40, 30
	s_delay_alu instid0(VALU_DEP_3) | instskip(SKIP_1) | instid1(VALU_DEP_4)
	v_alignbit_b32 v40, v40, v44, 30
	v_alignbit_b32 v15, v44, v15, 30
	v_sub_nc_u32_e32 v42, 0, v41
	s_delay_alu instid0(VALU_DEP_1) | instskip(SKIP_3) | instid1(VALU_DEP_4)
	v_xor_b32_e32 v43, v16, v42
	v_cmp_ne_u32_e32 vcc_lo, v16, v42
	v_xor_b32_e32 v40, v40, v42
	v_xor_b32_e32 v15, v15, v42
	v_clz_i32_u32_e32 v46, v43
	s_delay_alu instid0(VALU_DEP_1) | instskip(NEXT) | instid1(VALU_DEP_1)
	v_add_nc_u32_e32 v45, 1, v46
	v_cndmask_b32_e32 v16, 33, v45, vcc_lo
	s_delay_alu instid0(VALU_DEP_1) | instskip(NEXT) | instid1(VALU_DEP_1)
	v_sub_nc_u32_e32 v44, 32, v16
	v_alignbit_b32 v42, v43, v40, v44
	v_alignbit_b32 v15, v40, v15, v44
	v_lshrrev_b32_e32 v40, 29, v0
	s_delay_alu instid0(VALU_DEP_2) | instskip(NEXT) | instid1(VALU_DEP_2)
	v_alignbit_b32 v43, v42, v15, 9
	v_lshlrev_b32_e32 v40, 31, v40
	v_alignbit_b32 v42, v16, v42, 9
	s_delay_alu instid0(VALU_DEP_3) | instskip(NEXT) | instid1(VALU_DEP_2)
	v_clz_i32_u32_e32 v44, v43
	v_or_b32_e32 v42, v42, v40
	v_or_b32_e32 v40, 0x33800000, v40
	s_delay_alu instid0(VALU_DEP_3) | instskip(NEXT) | instid1(VALU_DEP_3)
	v_min_u32_e32 v44, 32, v44
	v_xor_b32_e32 v42, 1.0, v42
	s_delay_alu instid0(VALU_DEP_2) | instskip(SKIP_1) | instid1(VALU_DEP_3)
	v_sub_nc_u32_e32 v45, 31, v44
	v_add_lshl_u32 v16, v44, v16, 23
	v_mul_f32_e32 v44, 0x3fc90fda, v42
	s_delay_alu instid0(VALU_DEP_3) | instskip(NEXT) | instid1(VALU_DEP_3)
	v_alignbit_b32 v15, v43, v15, v45
	v_sub_nc_u32_e32 v16, v40, v16
	s_delay_alu instid0(VALU_DEP_3) | instskip(NEXT) | instid1(VALU_DEP_3)
	v_fma_f32 v40, 0x3fc90fda, v42, -v44
	v_lshrrev_b32_e32 v15, 9, v15
	s_delay_alu instid0(VALU_DEP_2) | instskip(NEXT) | instid1(VALU_DEP_2)
	v_fmac_f32_e32 v40, 0x33a22168, v42
	v_or_b32_e32 v15, v16, v15
	s_delay_alu instid0(VALU_DEP_1) | instskip(SKIP_1) | instid1(VALU_DEP_1)
	v_fmac_f32_e32 v40, 0x3fc90fda, v15
	v_lshrrev_b32_e32 v15, 30, v0
	v_dual_add_f32 v0, v44, v40 :: v_dual_add_nc_u32 v15, v41, v15
.LBB15_54:                              ;   in Loop: Header=BB15_9 Depth=1
	s_and_not1_saveexec_b32 s0, s3
; %bb.55:                               ;   in Loop: Header=BB15_9 Depth=1
	v_mul_f32_e64 v0, 0x3f22f983, |v6|
	s_delay_alu instid0(VALU_DEP_1) | instskip(NEXT) | instid1(VALU_DEP_1)
	v_rndne_f32_e32 v15, v0
	v_fma_f32 v0, 0xbfc90fda, v15, |v6|
	s_delay_alu instid0(VALU_DEP_1) | instskip(NEXT) | instid1(VALU_DEP_1)
	v_fmac_f32_e32 v0, 0xb3a22168, v15
	v_fmac_f32_e32 v0, 0xa7c234c4, v15
	v_cvt_i32_f32_e32 v15, v15
; %bb.56:                               ;   in Loop: Header=BB15_9 Depth=1
	s_or_b32 exec_lo, exec_lo, s0
	s_delay_alu instid0(VALU_DEP_1) | instskip(NEXT) | instid1(VALU_DEP_1)
	v_dual_mul_f32 v16, v0, v0 :: v_dual_and_b32 v15, 1, v15
	v_fmaak_f32 v40, s39, v16, 0xbf039337
	v_fmaak_f32 v41, s38, v16, 0x3ec54587
	s_delay_alu instid0(VALU_DEP_3) | instskip(NEXT) | instid1(VALU_DEP_3)
	v_cmp_eq_u32_e32 vcc_lo, 0, v15
	v_fmaak_f32 v40, v16, v40, 0x3f93f425
	s_delay_alu instid0(VALU_DEP_1) | instskip(SKIP_2) | instid1(VALU_DEP_1)
	v_rcp_f32_e32 v40, v40
	s_waitcnt_depctr 0xfff
	v_mul_f32_e32 v40, v41, v40
	v_mul_f32_e32 v16, v16, v40
	s_delay_alu instid0(VALU_DEP_1) | instskip(NEXT) | instid1(VALU_DEP_1)
	v_fma_f32 v40, v16, v0, v0
	v_rcp_f32_e32 v41, v40
	v_sub_f32_e32 v42, v40, v0
	s_delay_alu instid0(VALU_DEP_1) | instskip(SKIP_2) | instid1(VALU_DEP_1)
	v_fma_f32 v0, v16, v0, -v42
	s_waitcnt_depctr 0xfff
	v_fma_f32 v16, v40, -v41, 1.0
	v_fma_f32 v0, v0, -v41, v16
	s_delay_alu instid0(VALU_DEP_1) | instskip(NEXT) | instid1(VALU_DEP_1)
	v_fma_f32 v0, v0, -v41, -v41
	v_cndmask_b32_e32 v0, v0, v40, vcc_lo
	v_cmp_class_f32_e64 vcc_lo, v6, 0x1f8
	s_delay_alu instid0(VALU_DEP_2) | instskip(NEXT) | instid1(VALU_DEP_1)
	v_xor3_b32 v0, v9, v6, v0
	v_cndmask_b32_e32 v0, 0x7fc00000, v0, vcc_lo
	s_delay_alu instid0(VALU_DEP_1) | instskip(NEXT) | instid1(VALU_DEP_1)
	v_fma_f32 v0, s15, v0, s14
	v_bfe_u32 v6, v0, 16, 1
	v_cmp_o_f32_e32 vcc_lo, v0, v0
	s_delay_alu instid0(VALU_DEP_2) | instskip(NEXT) | instid1(VALU_DEP_1)
	v_add3_u32 v6, v0, v6, 0x7fff
	v_lshrrev_b32_e32 v6, 16, v6
	s_delay_alu instid0(VALU_DEP_1)
	v_cndmask_b32_e32 v0, 0x7fc0, v6, vcc_lo
	global_store_b16 v5, v0, s[12:13]
.LBB15_57:                              ;   in Loop: Header=BB15_9 Depth=1
	s_or_b32 exec_lo, exec_lo, s40
	v_add_co_u32 v15, vcc_lo, v12, s31
	v_add_co_ci_u32_e32 v16, vcc_lo, 0, v13, vcc_lo
	s_mov_b32 s40, exec_lo
	s_delay_alu instid0(VALU_DEP_1)
	v_cmpx_gt_i64_e64 s[16:17], v[15:16]
	s_cbranch_execz .LBB15_76
; %bb.58:                               ;   in Loop: Header=BB15_9 Depth=1
	s_and_not1_b32 vcc_lo, exec_lo, s11
	s_cbranch_vccnz .LBB15_64
; %bb.59:                               ;   in Loop: Header=BB15_9 Depth=1
	v_mov_b32_e32 v5, 0
	s_and_not1_b32 vcc_lo, exec_lo, s30
	s_cbranch_vccnz .LBB15_68
; %bb.60:                               ;   in Loop: Header=BB15_9 Depth=1
	s_and_not1_b32 vcc_lo, exec_lo, s34
	s_mov_b32 s0, 0
	s_cbranch_vccnz .LBB15_65
; %bb.61:                               ;   in Loop: Header=BB15_9 Depth=1
	v_dual_mov_b32 v5, 0 :: v_dual_mov_b32 v0, v15
	s_mov_b32 s41, 0
	s_mov_b64 s[0:1], s[20:21]
	s_mov_b64 s[2:3], s[24:25]
.LBB15_62:                              ;   Parent Loop BB15_9 Depth=1
                                        ; =>  This Inner Loop Header: Depth=2
	s_clause 0x1
	s_load_b256 s[44:51], s[0:1], 0x4
	s_load_b128 s[52:55], s[0:1], 0x24
	s_load_b128 s[56:59], s[2:3], 0x0
	s_add_u32 s0, s0, 48
	s_addc_u32 s1, s1, 0
	s_add_i32 s41, s41, 4
	s_add_u32 s2, s2, 16
	s_addc_u32 s3, s3, 0
	s_cmp_eq_u32 s35, s41
	s_waitcnt lgkmcnt(0)
	v_mul_hi_u32 v6, s45, v0
	s_delay_alu instid0(VALU_DEP_1) | instskip(NEXT) | instid1(VALU_DEP_1)
	v_add_nc_u32_e32 v6, v0, v6
	v_lshrrev_b32_e32 v6, s46, v6
	s_delay_alu instid0(VALU_DEP_1) | instskip(SKIP_1) | instid1(VALU_DEP_2)
	v_mul_hi_u32 v9, s48, v6
	v_mul_lo_u32 v41, v6, s44
	v_add_nc_u32_e32 v9, v6, v9
	s_delay_alu instid0(VALU_DEP_2) | instskip(NEXT) | instid1(VALU_DEP_2)
	v_sub_nc_u32_e32 v41, v0, v41
	v_lshrrev_b32_e32 v9, s49, v9
	s_delay_alu instid0(VALU_DEP_2) | instskip(NEXT) | instid1(VALU_DEP_2)
	v_mul_lo_u32 v41, v41, s56
	v_mul_hi_u32 v16, s51, v9
	v_mul_lo_u32 v42, v9, s47
	s_delay_alu instid0(VALU_DEP_2) | instskip(NEXT) | instid1(VALU_DEP_2)
	v_add_nc_u32_e32 v16, v9, v16
	v_sub_nc_u32_e32 v6, v6, v42
	s_delay_alu instid0(VALU_DEP_2) | instskip(NEXT) | instid1(VALU_DEP_2)
	v_lshrrev_b32_e32 v16, s52, v16
	v_mul_lo_u32 v6, v6, s57
	s_delay_alu instid0(VALU_DEP_2) | instskip(NEXT) | instid1(VALU_DEP_2)
	v_mul_hi_u32 v40, s54, v16
	v_add3_u32 v5, v41, v5, v6
	s_delay_alu instid0(VALU_DEP_2) | instskip(NEXT) | instid1(VALU_DEP_1)
	v_add_nc_u32_e32 v40, v16, v40
	v_lshrrev_b32_e32 v0, s55, v40
	v_mul_lo_u32 v40, v16, s50
	s_delay_alu instid0(VALU_DEP_2) | instskip(NEXT) | instid1(VALU_DEP_2)
	v_mul_lo_u32 v43, v0, s53
	v_sub_nc_u32_e32 v9, v9, v40
	s_delay_alu instid0(VALU_DEP_2) | instskip(NEXT) | instid1(VALU_DEP_2)
	v_sub_nc_u32_e32 v16, v16, v43
	v_mul_lo_u32 v9, v9, s58
	s_delay_alu instid0(VALU_DEP_2) | instskip(NEXT) | instid1(VALU_DEP_1)
	v_mul_lo_u32 v16, v16, s59
	v_add3_u32 v5, v9, v5, v16
	s_cbranch_scc0 .LBB15_62
; %bb.63:                               ;   in Loop: Header=BB15_9 Depth=1
	s_mov_b32 s0, s35
	s_and_not1_b32 vcc_lo, exec_lo, s36
	s_cbranch_vccz .LBB15_66
	s_branch .LBB15_68
.LBB15_64:                              ;   in Loop: Header=BB15_9 Depth=1
                                        ; implicit-def: $vgpr5
	s_branch .LBB15_69
.LBB15_65:                              ;   in Loop: Header=BB15_9 Depth=1
	v_mov_b32_e32 v0, v15
	s_and_not1_b32 vcc_lo, exec_lo, s36
	s_cbranch_vccnz .LBB15_68
.LBB15_66:                              ;   in Loop: Header=BB15_9 Depth=1
	s_lshl_b32 s1, s0, 2
	s_mul_i32 s2, s0, 12
	s_add_u32 s0, s24, s1
	s_addc_u32 s1, s25, 0
	s_add_u32 s2, s20, s2
	s_addc_u32 s3, s21, 0
	s_mov_b32 s41, s33
	.p2align	6
.LBB15_67:                              ;   Parent Loop BB15_9 Depth=1
                                        ; =>  This Inner Loop Header: Depth=2
	s_clause 0x1
	s_load_b64 s[42:43], s[2:3], 0x4
	s_load_b32 s44, s[2:3], 0xc
	s_add_u32 s2, s2, 12
	s_addc_u32 s3, s3, 0
	s_waitcnt lgkmcnt(0)
	v_mul_hi_u32 v6, s43, v0
	s_load_b32 s43, s[0:1], 0x0
	s_add_u32 s0, s0, 4
	s_addc_u32 s1, s1, 0
	s_add_i32 s41, s41, -1
	s_delay_alu instid0(SALU_CYCLE_1) | instskip(NEXT) | instid1(VALU_DEP_1)
	s_cmp_lg_u32 s41, 0
	v_add_nc_u32_e32 v6, v0, v6
	s_delay_alu instid0(VALU_DEP_1) | instskip(NEXT) | instid1(VALU_DEP_1)
	v_lshrrev_b32_e32 v6, s44, v6
	v_mul_lo_u32 v9, v6, s42
	s_delay_alu instid0(VALU_DEP_1) | instskip(SKIP_1) | instid1(VALU_DEP_1)
	v_sub_nc_u32_e32 v0, v0, v9
	s_waitcnt lgkmcnt(0)
	v_mad_u64_u32 v[40:41], null, v0, s43, v[5:6]
	s_delay_alu instid0(VALU_DEP_1)
	v_dual_mov_b32 v0, v6 :: v_dual_mov_b32 v5, v40
	s_cbranch_scc1 .LBB15_67
.LBB15_68:                              ;   in Loop: Header=BB15_9 Depth=1
	s_cbranch_execnz .LBB15_71
.LBB15_69:                              ;   in Loop: Header=BB15_9 Depth=1
	v_mul_hi_u32 v0, v15, s6
	s_and_not1_b32 vcc_lo, exec_lo, s4
	s_delay_alu instid0(VALU_DEP_1) | instskip(NEXT) | instid1(VALU_DEP_1)
	v_add_nc_u32_e32 v0, v0, v15
	v_lshrrev_b32_e32 v0, s7, v0
	s_delay_alu instid0(VALU_DEP_1) | instskip(NEXT) | instid1(VALU_DEP_1)
	v_mul_lo_u32 v5, v0, s5
	v_sub_nc_u32_e32 v5, v15, v5
	s_delay_alu instid0(VALU_DEP_1)
	v_mul_lo_u32 v5, v5, s22
	s_cbranch_vccnz .LBB15_71
; %bb.70:                               ;   in Loop: Header=BB15_9 Depth=1
	v_mul_hi_u32 v6, s9, v0
	s_delay_alu instid0(VALU_DEP_1) | instskip(NEXT) | instid1(VALU_DEP_1)
	v_add_nc_u32_e32 v6, v0, v6
	v_lshrrev_b32_e32 v6, s10, v6
	s_delay_alu instid0(VALU_DEP_1) | instskip(NEXT) | instid1(VALU_DEP_1)
	v_mul_lo_u32 v6, v6, s8
	v_sub_nc_u32_e32 v0, v0, v6
	s_delay_alu instid0(VALU_DEP_1) | instskip(NEXT) | instid1(VALU_DEP_1)
	v_mad_u64_u32 v[15:16], null, v0, s23, v[5:6]
	v_mov_b32_e32 v5, v15
.LBB15_71:                              ;   in Loop: Header=BB15_9 Depth=1
	v_cvt_f32_u32_e32 v0, v7
                                        ; implicit-def: $vgpr9
	s_mov_b32 s1, exec_lo
	s_delay_alu instid0(VALU_DEP_1) | instskip(NEXT) | instid1(VALU_DEP_1)
	v_fmaak_f32 v0, 0x2f800000, v0, 0x2f800000
	v_cmp_nlt_f32_e32 vcc_lo, 0x3f7ffffe, v0
	v_cndmask_b32_e32 v0, 0x3f7ffffe, v0, vcc_lo
	s_delay_alu instid0(VALU_DEP_1) | instskip(SKIP_1) | instid1(VALU_DEP_1)
	v_cmp_ngt_f32_e32 vcc_lo, 0x34000000, v0
	v_cndmask_b32_e32 v0, 0x34000000, v0, vcc_lo
	v_add_f32_e32 v0, -0.5, v0
	s_delay_alu instid0(VALU_DEP_1) | instskip(NEXT) | instid1(VALU_DEP_1)
	v_mul_f32_e32 v6, 0x40490fdb, v0
                                        ; implicit-def: $vgpr0
	v_and_b32_e32 v7, 0x7fffffff, v6
	v_cmpx_ngt_f32_e64 0x48000000, |v6|
	s_xor_b32 s3, exec_lo, s1
	s_cbranch_execz .LBB15_73
; %bb.72:                               ;   in Loop: Header=BB15_9 Depth=1
	s_delay_alu instid0(VALU_DEP_2) | instskip(NEXT) | instid1(VALU_DEP_1)
	v_and_or_b32 v9, v7, s37, 0x800000
	v_mad_u64_u32 v[15:16], null, 0xfe5163ab, v9, 0
	s_delay_alu instid0(VALU_DEP_1) | instskip(SKIP_1) | instid1(VALU_DEP_2)
	v_mov_b32_e32 v0, v16
	v_lshrrev_b32_e32 v16, 23, v7
	v_mad_u64_u32 v[40:41], null, 0x3c439041, v9, v[0:1]
	s_delay_alu instid0(VALU_DEP_2) | instskip(NEXT) | instid1(VALU_DEP_1)
	v_add_nc_u32_e32 v16, 0xffffff88, v16
	v_cmp_lt_u32_e32 vcc_lo, 63, v16
	s_delay_alu instid0(VALU_DEP_3) | instskip(SKIP_1) | instid1(VALU_DEP_2)
	v_mov_b32_e32 v0, v41
	v_cndmask_b32_e64 v45, 0, 0xffffffc0, vcc_lo
	v_mad_u64_u32 v[41:42], null, 0xdb629599, v9, v[0:1]
	s_delay_alu instid0(VALU_DEP_2) | instskip(NEXT) | instid1(VALU_DEP_2)
	v_add_nc_u32_e32 v16, v45, v16
	v_mov_b32_e32 v0, v42
	s_delay_alu instid0(VALU_DEP_2) | instskip(NEXT) | instid1(VALU_DEP_4)
	v_cmp_lt_u32_e64 s0, 31, v16
	v_cndmask_b32_e32 v15, v41, v15, vcc_lo
	s_delay_alu instid0(VALU_DEP_3) | instskip(NEXT) | instid1(VALU_DEP_3)
	v_mad_u64_u32 v[42:43], null, 0xf534ddc0, v9, v[0:1]
	v_cndmask_b32_e64 v46, 0, 0xffffffe0, s0
	s_delay_alu instid0(VALU_DEP_1) | instskip(NEXT) | instid1(VALU_DEP_3)
	v_add_nc_u32_e32 v16, v46, v16
	v_mov_b32_e32 v0, v43
	s_delay_alu instid0(VALU_DEP_2) | instskip(NEXT) | instid1(VALU_DEP_2)
	v_cmp_lt_u32_e64 s1, 31, v16
	v_mad_u64_u32 v[43:44], null, 0xfc2757d1, v9, v[0:1]
	s_delay_alu instid0(VALU_DEP_1) | instskip(NEXT) | instid1(VALU_DEP_1)
	v_mov_b32_e32 v0, v44
	v_mad_u64_u32 v[44:45], null, 0x4e441529, v9, v[0:1]
	s_delay_alu instid0(VALU_DEP_1) | instskip(NEXT) | instid1(VALU_DEP_1)
	v_mov_b32_e32 v0, v45
	v_mad_u64_u32 v[45:46], null, 0xa2f9836e, v9, v[0:1]
	v_cndmask_b32_e64 v0, 0, 0xffffffe0, s1
	s_delay_alu instid0(VALU_DEP_4) | instskip(NEXT) | instid1(VALU_DEP_2)
	v_cndmask_b32_e32 v9, v44, v42, vcc_lo
	v_dual_cndmask_b32 v45, v45, v43 :: v_dual_add_nc_u32 v0, v0, v16
	s_delay_alu instid0(VALU_DEP_4) | instskip(SKIP_1) | instid1(VALU_DEP_3)
	v_dual_cndmask_b32 v44, v46, v44 :: v_dual_cndmask_b32 v43, v43, v41
	v_cndmask_b32_e32 v16, v42, v40, vcc_lo
	v_cmp_eq_u32_e64 s2, 0, v0
	s_delay_alu instid0(VALU_DEP_4) | instskip(NEXT) | instid1(VALU_DEP_4)
	v_cndmask_b32_e64 v40, v45, v9, s0
	v_cndmask_b32_e64 v42, v44, v45, s0
	;; [unrolled: 1-line block ×3, first 2 shown]
	v_sub_nc_u32_e32 v44, 32, v0
	v_cndmask_b32_e64 v43, v43, v16, s0
	v_cndmask_b32_e64 v15, v16, v15, s0
	;; [unrolled: 1-line block ×4, first 2 shown]
	s_delay_alu instid0(VALU_DEP_4) | instskip(NEXT) | instid1(VALU_DEP_4)
	v_cndmask_b32_e64 v9, v9, v43, s1
	v_cndmask_b32_e64 v15, v43, v15, s1
	s_delay_alu instid0(VALU_DEP_3) | instskip(NEXT) | instid1(VALU_DEP_3)
	v_alignbit_b32 v45, v42, v40, v44
	v_alignbit_b32 v46, v40, v9, v44
	s_delay_alu instid0(VALU_DEP_3) | instskip(NEXT) | instid1(VALU_DEP_3)
	v_alignbit_b32 v44, v9, v15, v44
	v_cndmask_b32_e64 v0, v45, v42, s2
	s_delay_alu instid0(VALU_DEP_3) | instskip(NEXT) | instid1(VALU_DEP_3)
	v_cndmask_b32_e64 v40, v46, v40, s2
	v_cndmask_b32_e64 v9, v44, v9, s2
	s_delay_alu instid0(VALU_DEP_3) | instskip(NEXT) | instid1(VALU_DEP_3)
	v_bfe_u32 v41, v0, 29, 1
	v_alignbit_b32 v16, v0, v40, 30
	s_delay_alu instid0(VALU_DEP_3) | instskip(SKIP_1) | instid1(VALU_DEP_4)
	v_alignbit_b32 v40, v40, v9, 30
	v_alignbit_b32 v9, v9, v15, 30
	v_sub_nc_u32_e32 v42, 0, v41
	s_delay_alu instid0(VALU_DEP_1) | instskip(SKIP_3) | instid1(VALU_DEP_4)
	v_xor_b32_e32 v43, v16, v42
	v_cmp_ne_u32_e32 vcc_lo, v16, v42
	v_xor_b32_e32 v15, v40, v42
	v_xor_b32_e32 v9, v9, v42
	v_clz_i32_u32_e32 v45, v43
	s_delay_alu instid0(VALU_DEP_1) | instskip(NEXT) | instid1(VALU_DEP_1)
	v_add_nc_u32_e32 v44, 1, v45
	v_cndmask_b32_e32 v16, 33, v44, vcc_lo
	s_delay_alu instid0(VALU_DEP_1) | instskip(NEXT) | instid1(VALU_DEP_1)
	v_sub_nc_u32_e32 v40, 32, v16
	v_alignbit_b32 v42, v43, v15, v40
	v_alignbit_b32 v9, v15, v9, v40
	v_lshrrev_b32_e32 v15, 29, v0
	s_delay_alu instid0(VALU_DEP_2) | instskip(NEXT) | instid1(VALU_DEP_2)
	v_alignbit_b32 v40, v42, v9, 9
	v_lshlrev_b32_e32 v15, 31, v15
	v_alignbit_b32 v42, v16, v42, 9
	s_delay_alu instid0(VALU_DEP_3) | instskip(NEXT) | instid1(VALU_DEP_2)
	v_clz_i32_u32_e32 v43, v40
	v_or_b32_e32 v42, v42, v15
	v_or_b32_e32 v15, 0x33800000, v15
	s_delay_alu instid0(VALU_DEP_3) | instskip(NEXT) | instid1(VALU_DEP_3)
	v_min_u32_e32 v43, 32, v43
	v_xor_b32_e32 v42, 1.0, v42
	s_delay_alu instid0(VALU_DEP_2) | instskip(SKIP_1) | instid1(VALU_DEP_3)
	v_sub_nc_u32_e32 v44, 31, v43
	v_add_lshl_u32 v16, v43, v16, 23
	v_mul_f32_e32 v43, 0x3fc90fda, v42
	s_delay_alu instid0(VALU_DEP_3) | instskip(NEXT) | instid1(VALU_DEP_3)
	v_alignbit_b32 v9, v40, v9, v44
	v_sub_nc_u32_e32 v15, v15, v16
	s_delay_alu instid0(VALU_DEP_3) | instskip(NEXT) | instid1(VALU_DEP_3)
	v_fma_f32 v16, 0x3fc90fda, v42, -v43
	v_lshrrev_b32_e32 v9, 9, v9
	s_delay_alu instid0(VALU_DEP_2) | instskip(NEXT) | instid1(VALU_DEP_2)
	v_fmac_f32_e32 v16, 0x33a22168, v42
	v_or_b32_e32 v9, v15, v9
	s_delay_alu instid0(VALU_DEP_1) | instskip(SKIP_1) | instid1(VALU_DEP_1)
	v_fmac_f32_e32 v16, 0x3fc90fda, v9
	v_lshrrev_b32_e32 v9, 30, v0
	v_dual_add_f32 v0, v43, v16 :: v_dual_add_nc_u32 v9, v41, v9
.LBB15_73:                              ;   in Loop: Header=BB15_9 Depth=1
	s_and_not1_saveexec_b32 s0, s3
; %bb.74:                               ;   in Loop: Header=BB15_9 Depth=1
	v_mul_f32_e64 v0, 0x3f22f983, |v6|
	s_delay_alu instid0(VALU_DEP_1) | instskip(NEXT) | instid1(VALU_DEP_1)
	v_rndne_f32_e32 v9, v0
	v_fma_f32 v0, 0xbfc90fda, v9, |v6|
	s_delay_alu instid0(VALU_DEP_1) | instskip(NEXT) | instid1(VALU_DEP_1)
	v_fmac_f32_e32 v0, 0xb3a22168, v9
	v_fmac_f32_e32 v0, 0xa7c234c4, v9
	v_cvt_i32_f32_e32 v9, v9
; %bb.75:                               ;   in Loop: Header=BB15_9 Depth=1
	s_or_b32 exec_lo, exec_lo, s0
	s_delay_alu instid0(VALU_DEP_2) | instskip(NEXT) | instid1(VALU_DEP_1)
	v_mul_f32_e32 v15, v0, v0
	v_dual_fmaak_f32 v16, s39, v15, 0xbf039337 :: v_dual_and_b32 v9, 1, v9
	v_fmaak_f32 v40, s38, v15, 0x3ec54587
	s_delay_alu instid0(VALU_DEP_2) | instskip(NEXT) | instid1(VALU_DEP_3)
	v_cmp_eq_u32_e32 vcc_lo, 0, v9
	v_fmaak_f32 v16, v15, v16, 0x3f93f425
	s_delay_alu instid0(VALU_DEP_1) | instskip(SKIP_2) | instid1(VALU_DEP_1)
	v_rcp_f32_e32 v16, v16
	s_waitcnt_depctr 0xfff
	v_mul_f32_e32 v16, v40, v16
	v_mul_f32_e32 v15, v15, v16
	s_delay_alu instid0(VALU_DEP_1) | instskip(NEXT) | instid1(VALU_DEP_1)
	v_fma_f32 v16, v15, v0, v0
	v_rcp_f32_e32 v40, v16
	v_sub_f32_e32 v41, v16, v0
	s_delay_alu instid0(VALU_DEP_1) | instskip(SKIP_2) | instid1(VALU_DEP_1)
	v_fma_f32 v0, v15, v0, -v41
	s_waitcnt_depctr 0xfff
	v_fma_f32 v15, v16, -v40, 1.0
	v_fma_f32 v0, v0, -v40, v15
	s_delay_alu instid0(VALU_DEP_1) | instskip(NEXT) | instid1(VALU_DEP_1)
	v_fma_f32 v0, v0, -v40, -v40
	v_cndmask_b32_e32 v0, v0, v16, vcc_lo
	v_cmp_class_f32_e64 vcc_lo, v6, 0x1f8
	s_delay_alu instid0(VALU_DEP_2) | instskip(NEXT) | instid1(VALU_DEP_1)
	v_xor3_b32 v0, v7, v6, v0
	v_cndmask_b32_e32 v0, 0x7fc00000, v0, vcc_lo
	s_delay_alu instid0(VALU_DEP_1) | instskip(NEXT) | instid1(VALU_DEP_1)
	v_fma_f32 v0, s15, v0, s14
	v_bfe_u32 v6, v0, 16, 1
	v_cmp_o_f32_e32 vcc_lo, v0, v0
	s_delay_alu instid0(VALU_DEP_2) | instskip(NEXT) | instid1(VALU_DEP_1)
	v_add3_u32 v6, v0, v6, 0x7fff
	v_lshrrev_b32_e32 v6, 16, v6
	s_delay_alu instid0(VALU_DEP_1)
	v_cndmask_b32_e32 v0, 0x7fc0, v6, vcc_lo
	global_store_b16 v5, v0, s[12:13]
.LBB15_76:                              ;   in Loop: Header=BB15_9 Depth=1
	s_or_b32 exec_lo, exec_lo, s40
	v_add_co_u32 v6, vcc_lo, v12, s29
	v_add_co_ci_u32_e32 v7, vcc_lo, 0, v13, vcc_lo
	s_mov_b32 s40, exec_lo
	s_delay_alu instid0(VALU_DEP_1)
	v_cmpx_gt_i64_e64 s[16:17], v[6:7]
	s_cbranch_execz .LBB15_8
; %bb.77:                               ;   in Loop: Header=BB15_9 Depth=1
	s_and_not1_b32 vcc_lo, exec_lo, s11
	s_cbranch_vccnz .LBB15_83
; %bb.78:                               ;   in Loop: Header=BB15_9 Depth=1
	v_mov_b32_e32 v5, 0
	s_and_not1_b32 vcc_lo, exec_lo, s30
	s_cbranch_vccnz .LBB15_87
; %bb.79:                               ;   in Loop: Header=BB15_9 Depth=1
	s_and_not1_b32 vcc_lo, exec_lo, s34
	s_mov_b32 s0, 0
	s_cbranch_vccnz .LBB15_84
; %bb.80:                               ;   in Loop: Header=BB15_9 Depth=1
	v_dual_mov_b32 v5, 0 :: v_dual_mov_b32 v0, v6
	s_mov_b32 s41, 0
	s_mov_b64 s[0:1], s[20:21]
	s_mov_b64 s[2:3], s[24:25]
.LBB15_81:                              ;   Parent Loop BB15_9 Depth=1
                                        ; =>  This Inner Loop Header: Depth=2
	s_clause 0x1
	s_load_b256 s[44:51], s[0:1], 0x4
	s_load_b128 s[52:55], s[0:1], 0x24
	s_load_b128 s[56:59], s[2:3], 0x0
	s_add_u32 s0, s0, 48
	s_addc_u32 s1, s1, 0
	s_add_i32 s41, s41, 4
	s_add_u32 s2, s2, 16
	s_addc_u32 s3, s3, 0
	s_cmp_eq_u32 s35, s41
	s_waitcnt lgkmcnt(0)
	v_mul_hi_u32 v7, s45, v0
	s_delay_alu instid0(VALU_DEP_1) | instskip(NEXT) | instid1(VALU_DEP_1)
	v_add_nc_u32_e32 v7, v0, v7
	v_lshrrev_b32_e32 v7, s46, v7
	s_delay_alu instid0(VALU_DEP_1) | instskip(SKIP_1) | instid1(VALU_DEP_2)
	v_mul_hi_u32 v9, s48, v7
	v_mul_lo_u32 v40, v7, s44
	v_add_nc_u32_e32 v9, v7, v9
	s_delay_alu instid0(VALU_DEP_2) | instskip(NEXT) | instid1(VALU_DEP_2)
	v_sub_nc_u32_e32 v40, v0, v40
	v_lshrrev_b32_e32 v9, s49, v9
	s_delay_alu instid0(VALU_DEP_2) | instskip(NEXT) | instid1(VALU_DEP_2)
	v_mul_lo_u32 v40, v40, s56
	v_mul_hi_u32 v15, s51, v9
	v_mul_lo_u32 v41, v9, s47
	s_delay_alu instid0(VALU_DEP_2) | instskip(NEXT) | instid1(VALU_DEP_2)
	v_add_nc_u32_e32 v15, v9, v15
	v_sub_nc_u32_e32 v7, v7, v41
	s_delay_alu instid0(VALU_DEP_2) | instskip(NEXT) | instid1(VALU_DEP_2)
	v_lshrrev_b32_e32 v15, s52, v15
	v_mul_lo_u32 v7, v7, s57
	s_delay_alu instid0(VALU_DEP_2) | instskip(NEXT) | instid1(VALU_DEP_2)
	v_mul_hi_u32 v16, s54, v15
	v_add3_u32 v5, v40, v5, v7
	s_delay_alu instid0(VALU_DEP_2) | instskip(NEXT) | instid1(VALU_DEP_1)
	v_add_nc_u32_e32 v16, v15, v16
	v_lshrrev_b32_e32 v0, s55, v16
	v_mul_lo_u32 v16, v15, s50
	s_delay_alu instid0(VALU_DEP_2) | instskip(NEXT) | instid1(VALU_DEP_2)
	v_mul_lo_u32 v42, v0, s53
	v_sub_nc_u32_e32 v9, v9, v16
	s_delay_alu instid0(VALU_DEP_2) | instskip(NEXT) | instid1(VALU_DEP_2)
	v_sub_nc_u32_e32 v15, v15, v42
	v_mul_lo_u32 v9, v9, s58
	s_delay_alu instid0(VALU_DEP_2) | instskip(NEXT) | instid1(VALU_DEP_1)
	v_mul_lo_u32 v15, v15, s59
	v_add3_u32 v5, v9, v5, v15
	s_cbranch_scc0 .LBB15_81
; %bb.82:                               ;   in Loop: Header=BB15_9 Depth=1
	s_mov_b32 s0, s35
	s_and_not1_b32 vcc_lo, exec_lo, s36
	s_cbranch_vccz .LBB15_85
	s_branch .LBB15_87
.LBB15_83:                              ;   in Loop: Header=BB15_9 Depth=1
                                        ; implicit-def: $vgpr5
	s_branch .LBB15_88
.LBB15_84:                              ;   in Loop: Header=BB15_9 Depth=1
	v_mov_b32_e32 v0, v6
	s_and_not1_b32 vcc_lo, exec_lo, s36
	s_cbranch_vccnz .LBB15_87
.LBB15_85:                              ;   in Loop: Header=BB15_9 Depth=1
	s_lshl_b32 s1, s0, 2
	s_mul_i32 s2, s0, 12
	s_add_u32 s0, s24, s1
	s_addc_u32 s1, s25, 0
	s_add_u32 s2, s20, s2
	s_addc_u32 s3, s21, 0
	s_mov_b32 s41, s33
	.p2align	6
.LBB15_86:                              ;   Parent Loop BB15_9 Depth=1
                                        ; =>  This Inner Loop Header: Depth=2
	s_clause 0x1
	s_load_b64 s[42:43], s[2:3], 0x4
	s_load_b32 s44, s[2:3], 0xc
	s_add_u32 s2, s2, 12
	s_addc_u32 s3, s3, 0
	s_waitcnt lgkmcnt(0)
	v_mul_hi_u32 v7, s43, v0
	s_load_b32 s43, s[0:1], 0x0
	s_add_u32 s0, s0, 4
	s_addc_u32 s1, s1, 0
	s_add_i32 s41, s41, -1
	s_delay_alu instid0(SALU_CYCLE_1) | instskip(NEXT) | instid1(VALU_DEP_1)
	s_cmp_lg_u32 s41, 0
	v_add_nc_u32_e32 v7, v0, v7
	s_delay_alu instid0(VALU_DEP_1) | instskip(NEXT) | instid1(VALU_DEP_1)
	v_lshrrev_b32_e32 v7, s44, v7
	v_mul_lo_u32 v9, v7, s42
	s_delay_alu instid0(VALU_DEP_1) | instskip(SKIP_1) | instid1(VALU_DEP_1)
	v_sub_nc_u32_e32 v0, v0, v9
	s_waitcnt lgkmcnt(0)
	v_mad_u64_u32 v[15:16], null, v0, s43, v[5:6]
	v_mov_b32_e32 v0, v7
	s_delay_alu instid0(VALU_DEP_2)
	v_mov_b32_e32 v5, v15
	s_cbranch_scc1 .LBB15_86
.LBB15_87:                              ;   in Loop: Header=BB15_9 Depth=1
	s_cbranch_execnz .LBB15_90
.LBB15_88:                              ;   in Loop: Header=BB15_9 Depth=1
	v_mul_hi_u32 v0, v6, s6
	s_and_not1_b32 vcc_lo, exec_lo, s4
	s_delay_alu instid0(VALU_DEP_1) | instskip(NEXT) | instid1(VALU_DEP_1)
	v_add_nc_u32_e32 v0, v0, v6
	v_lshrrev_b32_e32 v0, s7, v0
	s_delay_alu instid0(VALU_DEP_1) | instskip(NEXT) | instid1(VALU_DEP_1)
	v_mul_lo_u32 v5, v0, s5
	v_sub_nc_u32_e32 v5, v6, v5
	s_delay_alu instid0(VALU_DEP_1)
	v_mul_lo_u32 v5, v5, s22
	s_cbranch_vccnz .LBB15_90
; %bb.89:                               ;   in Loop: Header=BB15_9 Depth=1
	v_mul_hi_u32 v6, s9, v0
	s_delay_alu instid0(VALU_DEP_1) | instskip(NEXT) | instid1(VALU_DEP_1)
	v_add_nc_u32_e32 v6, v0, v6
	v_lshrrev_b32_e32 v6, s10, v6
	s_delay_alu instid0(VALU_DEP_1) | instskip(NEXT) | instid1(VALU_DEP_1)
	v_mul_lo_u32 v6, v6, s8
	v_sub_nc_u32_e32 v0, v0, v6
	s_delay_alu instid0(VALU_DEP_1) | instskip(NEXT) | instid1(VALU_DEP_1)
	v_mad_u64_u32 v[6:7], null, v0, s23, v[5:6]
	v_mov_b32_e32 v5, v6
.LBB15_90:                              ;   in Loop: Header=BB15_9 Depth=1
	v_cvt_f32_u32_e32 v0, v8
                                        ; implicit-def: $vgpr8
	s_mov_b32 s1, exec_lo
	s_delay_alu instid0(VALU_DEP_1) | instskip(NEXT) | instid1(VALU_DEP_1)
	v_fmaak_f32 v0, 0x2f800000, v0, 0x2f800000
	v_cmp_nlt_f32_e32 vcc_lo, 0x3f7ffffe, v0
	v_cndmask_b32_e32 v0, 0x3f7ffffe, v0, vcc_lo
	s_delay_alu instid0(VALU_DEP_1) | instskip(SKIP_1) | instid1(VALU_DEP_1)
	v_cmp_ngt_f32_e32 vcc_lo, 0x34000000, v0
	v_cndmask_b32_e32 v0, 0x34000000, v0, vcc_lo
	v_add_f32_e32 v0, -0.5, v0
	s_delay_alu instid0(VALU_DEP_1) | instskip(NEXT) | instid1(VALU_DEP_1)
	v_mul_f32_e32 v6, 0x40490fdb, v0
                                        ; implicit-def: $vgpr0
	v_and_b32_e32 v7, 0x7fffffff, v6
	v_cmpx_ngt_f32_e64 0x48000000, |v6|
	s_xor_b32 s3, exec_lo, s1
	s_cbranch_execz .LBB15_92
; %bb.91:                               ;   in Loop: Header=BB15_9 Depth=1
	s_delay_alu instid0(VALU_DEP_2) | instskip(NEXT) | instid1(VALU_DEP_1)
	v_and_or_b32 v46, v7, s37, 0x800000
	v_mad_u64_u32 v[8:9], null, 0xfe5163ab, v46, 0
	s_delay_alu instid0(VALU_DEP_1) | instskip(SKIP_1) | instid1(VALU_DEP_1)
	v_mov_b32_e32 v0, v9
	v_lshrrev_b32_e32 v9, 23, v7
	v_add_nc_u32_e32 v9, 0xffffff88, v9
	s_delay_alu instid0(VALU_DEP_3) | instskip(NEXT) | instid1(VALU_DEP_2)
	v_mad_u64_u32 v[15:16], null, 0x3c439041, v46, v[0:1]
	v_cmp_lt_u32_e32 vcc_lo, 63, v9
	s_delay_alu instid0(VALU_DEP_2) | instskip(SKIP_1) | instid1(VALU_DEP_2)
	v_mov_b32_e32 v0, v16
	v_cndmask_b32_e64 v16, 0, 0xffffffc0, vcc_lo
	v_mad_u64_u32 v[40:41], null, 0xdb629599, v46, v[0:1]
	s_delay_alu instid0(VALU_DEP_2) | instskip(NEXT) | instid1(VALU_DEP_1)
	v_add_nc_u32_e32 v9, v16, v9
	v_cmp_lt_u32_e64 s0, 31, v9
	s_delay_alu instid0(VALU_DEP_3) | instskip(NEXT) | instid1(VALU_DEP_4)
	v_mov_b32_e32 v0, v41
	v_cndmask_b32_e32 v8, v40, v8, vcc_lo
	s_delay_alu instid0(VALU_DEP_3) | instskip(NEXT) | instid1(VALU_DEP_3)
	v_cndmask_b32_e64 v16, 0, 0xffffffe0, s0
	v_mad_u64_u32 v[41:42], null, 0xf534ddc0, v46, v[0:1]
	s_delay_alu instid0(VALU_DEP_1) | instskip(NEXT) | instid1(VALU_DEP_1)
	v_dual_mov_b32 v0, v42 :: v_dual_add_nc_u32 v9, v16, v9
	v_cmp_lt_u32_e64 s1, 31, v9
	s_delay_alu instid0(VALU_DEP_2) | instskip(NEXT) | instid1(VALU_DEP_1)
	v_mad_u64_u32 v[42:43], null, 0xfc2757d1, v46, v[0:1]
	v_mov_b32_e32 v0, v43
	s_delay_alu instid0(VALU_DEP_1) | instskip(NEXT) | instid1(VALU_DEP_1)
	v_mad_u64_u32 v[43:44], null, 0x4e441529, v46, v[0:1]
	v_mov_b32_e32 v0, v44
	s_delay_alu instid0(VALU_DEP_2) | instskip(NEXT) | instid1(VALU_DEP_2)
	v_cndmask_b32_e32 v16, v43, v41, vcc_lo
	v_mad_u64_u32 v[44:45], null, 0xa2f9836e, v46, v[0:1]
	v_cndmask_b32_e64 v0, 0, 0xffffffe0, s1
	s_delay_alu instid0(VALU_DEP_1) | instskip(NEXT) | instid1(VALU_DEP_3)
	v_add_nc_u32_e32 v0, v0, v9
	v_dual_cndmask_b32 v44, v44, v42 :: v_dual_cndmask_b32 v43, v45, v43
	v_dual_cndmask_b32 v42, v42, v40 :: v_dual_cndmask_b32 v9, v41, v15
	s_delay_alu instid0(VALU_DEP_3) | instskip(NEXT) | instid1(VALU_DEP_3)
	v_cmp_eq_u32_e64 s2, 0, v0
	v_cndmask_b32_e64 v15, v44, v16, s0
	s_delay_alu instid0(VALU_DEP_4) | instskip(NEXT) | instid1(VALU_DEP_4)
	v_cndmask_b32_e64 v41, v43, v44, s0
	v_cndmask_b32_e64 v16, v16, v42, s0
	v_sub_nc_u32_e32 v43, 32, v0
	v_cndmask_b32_e64 v42, v42, v9, s0
	v_cndmask_b32_e64 v8, v9, v8, s0
	;; [unrolled: 1-line block ×4, first 2 shown]
	s_delay_alu instid0(VALU_DEP_4) | instskip(NEXT) | instid1(VALU_DEP_4)
	v_cndmask_b32_e64 v16, v16, v42, s1
	v_cndmask_b32_e64 v8, v42, v8, s1
	s_delay_alu instid0(VALU_DEP_3) | instskip(NEXT) | instid1(VALU_DEP_3)
	v_alignbit_b32 v44, v41, v15, v43
	v_alignbit_b32 v45, v15, v16, v43
	s_delay_alu instid0(VALU_DEP_3) | instskip(NEXT) | instid1(VALU_DEP_3)
	v_alignbit_b32 v43, v16, v8, v43
	v_cndmask_b32_e64 v0, v44, v41, s2
	s_delay_alu instid0(VALU_DEP_3) | instskip(NEXT) | instid1(VALU_DEP_3)
	v_cndmask_b32_e64 v15, v45, v15, s2
	v_cndmask_b32_e64 v16, v43, v16, s2
	s_delay_alu instid0(VALU_DEP_3) | instskip(NEXT) | instid1(VALU_DEP_3)
	v_bfe_u32 v40, v0, 29, 1
	v_alignbit_b32 v9, v0, v15, 30
	s_delay_alu instid0(VALU_DEP_3) | instskip(SKIP_1) | instid1(VALU_DEP_4)
	v_alignbit_b32 v15, v15, v16, 30
	v_alignbit_b32 v8, v16, v8, 30
	v_sub_nc_u32_e32 v41, 0, v40
	s_delay_alu instid0(VALU_DEP_1) | instskip(SKIP_3) | instid1(VALU_DEP_4)
	v_xor_b32_e32 v42, v9, v41
	v_cmp_ne_u32_e32 vcc_lo, v9, v41
	v_xor_b32_e32 v15, v15, v41
	v_xor_b32_e32 v8, v8, v41
	v_clz_i32_u32_e32 v44, v42
	s_delay_alu instid0(VALU_DEP_1) | instskip(NEXT) | instid1(VALU_DEP_1)
	v_add_nc_u32_e32 v43, 1, v44
	v_cndmask_b32_e32 v9, 33, v43, vcc_lo
	s_delay_alu instid0(VALU_DEP_1) | instskip(NEXT) | instid1(VALU_DEP_1)
	v_sub_nc_u32_e32 v16, 32, v9
	v_alignbit_b32 v41, v42, v15, v16
	v_alignbit_b32 v8, v15, v8, v16
	v_lshrrev_b32_e32 v15, 29, v0
	s_delay_alu instid0(VALU_DEP_2) | instskip(NEXT) | instid1(VALU_DEP_2)
	v_alignbit_b32 v16, v41, v8, 9
	v_lshlrev_b32_e32 v15, 31, v15
	v_alignbit_b32 v41, v9, v41, 9
	s_delay_alu instid0(VALU_DEP_3) | instskip(NEXT) | instid1(VALU_DEP_2)
	v_clz_i32_u32_e32 v42, v16
	v_or_b32_e32 v41, v41, v15
	v_or_b32_e32 v15, 0x33800000, v15
	s_delay_alu instid0(VALU_DEP_3) | instskip(NEXT) | instid1(VALU_DEP_3)
	v_min_u32_e32 v42, 32, v42
	v_xor_b32_e32 v41, 1.0, v41
	s_delay_alu instid0(VALU_DEP_2) | instskip(SKIP_1) | instid1(VALU_DEP_3)
	v_sub_nc_u32_e32 v43, 31, v42
	v_add_lshl_u32 v9, v42, v9, 23
	v_mul_f32_e32 v42, 0x3fc90fda, v41
	s_delay_alu instid0(VALU_DEP_3) | instskip(NEXT) | instid1(VALU_DEP_3)
	v_alignbit_b32 v8, v16, v8, v43
	v_sub_nc_u32_e32 v9, v15, v9
	s_delay_alu instid0(VALU_DEP_3) | instskip(NEXT) | instid1(VALU_DEP_3)
	v_fma_f32 v15, 0x3fc90fda, v41, -v42
	v_lshrrev_b32_e32 v8, 9, v8
	s_delay_alu instid0(VALU_DEP_2) | instskip(NEXT) | instid1(VALU_DEP_2)
	v_fmac_f32_e32 v15, 0x33a22168, v41
	v_or_b32_e32 v8, v9, v8
	s_delay_alu instid0(VALU_DEP_1) | instskip(SKIP_1) | instid1(VALU_DEP_2)
	v_fmac_f32_e32 v15, 0x3fc90fda, v8
	v_lshrrev_b32_e32 v8, 30, v0
	v_add_f32_e32 v0, v42, v15
	s_delay_alu instid0(VALU_DEP_2)
	v_add_nc_u32_e32 v8, v40, v8
.LBB15_92:                              ;   in Loop: Header=BB15_9 Depth=1
	s_and_not1_saveexec_b32 s0, s3
	s_cbranch_execz .LBB15_7
; %bb.93:                               ;   in Loop: Header=BB15_9 Depth=1
	v_mul_f32_e64 v0, 0x3f22f983, |v6|
	s_delay_alu instid0(VALU_DEP_1) | instskip(NEXT) | instid1(VALU_DEP_1)
	v_rndne_f32_e32 v8, v0
	v_fma_f32 v0, 0xbfc90fda, v8, |v6|
	s_delay_alu instid0(VALU_DEP_1) | instskip(NEXT) | instid1(VALU_DEP_1)
	v_fmac_f32_e32 v0, 0xb3a22168, v8
	v_fmac_f32_e32 v0, 0xa7c234c4, v8
	v_cvt_i32_f32_e32 v8, v8
	s_branch .LBB15_7
.LBB15_94:
	s_endpgm
.LBB15_95:
                                        ; implicit-def: $sgpr2_sgpr3
	s_branch .LBB15_4
	.section	.rodata,"a",@progbits
	.p2align	6, 0x0
	.amdhsa_kernel _ZN2at6native12_GLOBAL__N_143distribution_elementwise_grid_stride_kernelIfLi4EZNS0_9templates4cuda21uniform_and_transformIN3c108BFloat16EfPNS_17CUDAGeneratorImplEZZZNS4_13cauchy_kernelIS9_EEvRNS_18TensorIteratorBaseEddT_ENKUlvE_clEvENKUlvE2_clEvEUlfE_EEvSC_T1_T2_EUlP25hiprandStatePhilox4_32_10E0_ZNS1_27distribution_nullary_kernelIS7_f15HIP_vector_typeIfLj4EES9_SL_SG_EEvSC_SI_RKT3_T4_EUlifE0_EEvlNS_15PhiloxCudaStateESH_SI_
		.amdhsa_group_segment_fixed_size 0
		.amdhsa_private_segment_fixed_size 0
		.amdhsa_kernarg_size 584
		.amdhsa_user_sgpr_count 15
		.amdhsa_user_sgpr_dispatch_ptr 0
		.amdhsa_user_sgpr_queue_ptr 0
		.amdhsa_user_sgpr_kernarg_segment_ptr 1
		.amdhsa_user_sgpr_dispatch_id 0
		.amdhsa_user_sgpr_private_segment_size 0
		.amdhsa_wavefront_size32 1
		.amdhsa_uses_dynamic_stack 0
		.amdhsa_enable_private_segment 0
		.amdhsa_system_sgpr_workgroup_id_x 1
		.amdhsa_system_sgpr_workgroup_id_y 0
		.amdhsa_system_sgpr_workgroup_id_z 0
		.amdhsa_system_sgpr_workgroup_info 0
		.amdhsa_system_vgpr_workitem_id 0
		.amdhsa_next_free_vgpr 49
		.amdhsa_next_free_sgpr 60
		.amdhsa_reserve_vcc 1
		.amdhsa_float_round_mode_32 0
		.amdhsa_float_round_mode_16_64 0
		.amdhsa_float_denorm_mode_32 3
		.amdhsa_float_denorm_mode_16_64 3
		.amdhsa_dx10_clamp 1
		.amdhsa_ieee_mode 1
		.amdhsa_fp16_overflow 0
		.amdhsa_workgroup_processor_mode 1
		.amdhsa_memory_ordered 1
		.amdhsa_forward_progress 0
		.amdhsa_shared_vgpr_count 0
		.amdhsa_exception_fp_ieee_invalid_op 0
		.amdhsa_exception_fp_denorm_src 0
		.amdhsa_exception_fp_ieee_div_zero 0
		.amdhsa_exception_fp_ieee_overflow 0
		.amdhsa_exception_fp_ieee_underflow 0
		.amdhsa_exception_fp_ieee_inexact 0
		.amdhsa_exception_int_div_zero 0
	.end_amdhsa_kernel
	.section	.text._ZN2at6native12_GLOBAL__N_143distribution_elementwise_grid_stride_kernelIfLi4EZNS0_9templates4cuda21uniform_and_transformIN3c108BFloat16EfPNS_17CUDAGeneratorImplEZZZNS4_13cauchy_kernelIS9_EEvRNS_18TensorIteratorBaseEddT_ENKUlvE_clEvENKUlvE2_clEvEUlfE_EEvSC_T1_T2_EUlP25hiprandStatePhilox4_32_10E0_ZNS1_27distribution_nullary_kernelIS7_f15HIP_vector_typeIfLj4EES9_SL_SG_EEvSC_SI_RKT3_T4_EUlifE0_EEvlNS_15PhiloxCudaStateESH_SI_,"axG",@progbits,_ZN2at6native12_GLOBAL__N_143distribution_elementwise_grid_stride_kernelIfLi4EZNS0_9templates4cuda21uniform_and_transformIN3c108BFloat16EfPNS_17CUDAGeneratorImplEZZZNS4_13cauchy_kernelIS9_EEvRNS_18TensorIteratorBaseEddT_ENKUlvE_clEvENKUlvE2_clEvEUlfE_EEvSC_T1_T2_EUlP25hiprandStatePhilox4_32_10E0_ZNS1_27distribution_nullary_kernelIS7_f15HIP_vector_typeIfLj4EES9_SL_SG_EEvSC_SI_RKT3_T4_EUlifE0_EEvlNS_15PhiloxCudaStateESH_SI_,comdat
.Lfunc_end15:
	.size	_ZN2at6native12_GLOBAL__N_143distribution_elementwise_grid_stride_kernelIfLi4EZNS0_9templates4cuda21uniform_and_transformIN3c108BFloat16EfPNS_17CUDAGeneratorImplEZZZNS4_13cauchy_kernelIS9_EEvRNS_18TensorIteratorBaseEddT_ENKUlvE_clEvENKUlvE2_clEvEUlfE_EEvSC_T1_T2_EUlP25hiprandStatePhilox4_32_10E0_ZNS1_27distribution_nullary_kernelIS7_f15HIP_vector_typeIfLj4EES9_SL_SG_EEvSC_SI_RKT3_T4_EUlifE0_EEvlNS_15PhiloxCudaStateESH_SI_, .Lfunc_end15-_ZN2at6native12_GLOBAL__N_143distribution_elementwise_grid_stride_kernelIfLi4EZNS0_9templates4cuda21uniform_and_transformIN3c108BFloat16EfPNS_17CUDAGeneratorImplEZZZNS4_13cauchy_kernelIS9_EEvRNS_18TensorIteratorBaseEddT_ENKUlvE_clEvENKUlvE2_clEvEUlfE_EEvSC_T1_T2_EUlP25hiprandStatePhilox4_32_10E0_ZNS1_27distribution_nullary_kernelIS7_f15HIP_vector_typeIfLj4EES9_SL_SG_EEvSC_SI_RKT3_T4_EUlifE0_EEvlNS_15PhiloxCudaStateESH_SI_
                                        ; -- End function
	.section	.AMDGPU.csdata,"",@progbits
; Kernel info:
; codeLenInByte = 9480
; NumSgprs: 62
; NumVgprs: 49
; ScratchSize: 0
; MemoryBound: 0
; FloatMode: 240
; IeeeMode: 1
; LDSByteSize: 0 bytes/workgroup (compile time only)
; SGPRBlocks: 7
; VGPRBlocks: 6
; NumSGPRsForWavesPerEU: 62
; NumVGPRsForWavesPerEU: 49
; Occupancy: 16
; WaveLimiterHint : 1
; COMPUTE_PGM_RSRC2:SCRATCH_EN: 0
; COMPUTE_PGM_RSRC2:USER_SGPR: 15
; COMPUTE_PGM_RSRC2:TRAP_HANDLER: 0
; COMPUTE_PGM_RSRC2:TGID_X_EN: 1
; COMPUTE_PGM_RSRC2:TGID_Y_EN: 0
; COMPUTE_PGM_RSRC2:TGID_Z_EN: 0
; COMPUTE_PGM_RSRC2:TIDIG_COMP_CNT: 0
	.text
	.p2alignl 7, 3214868480
	.fill 96, 4, 3214868480
	.type	__hip_cuid_147686ee33fa97e6,@object ; @__hip_cuid_147686ee33fa97e6
	.section	.bss,"aw",@nobits
	.globl	__hip_cuid_147686ee33fa97e6
__hip_cuid_147686ee33fa97e6:
	.byte	0                               ; 0x0
	.size	__hip_cuid_147686ee33fa97e6, 1

	.ident	"AMD clang version 19.0.0git (https://github.com/RadeonOpenCompute/llvm-project roc-6.4.0 25133 c7fe45cf4b819c5991fe208aaa96edf142730f1d)"
	.section	".note.GNU-stack","",@progbits
	.addrsig
	.addrsig_sym __hip_cuid_147686ee33fa97e6
	.amdgpu_metadata
---
amdhsa.kernels:
  - .args:
      - .offset:         0
        .size:           8
        .value_kind:     by_value
      - .offset:         8
        .size:           32
        .value_kind:     by_value
      - .offset:         40
        .size:           1
        .value_kind:     by_value
      - .offset:         48
        .size:           32
        .value_kind:     by_value
      - .offset:         80
        .size:           4
        .value_kind:     hidden_block_count_x
      - .offset:         84
        .size:           4
        .value_kind:     hidden_block_count_y
      - .offset:         88
        .size:           4
        .value_kind:     hidden_block_count_z
      - .offset:         92
        .size:           2
        .value_kind:     hidden_group_size_x
      - .offset:         94
        .size:           2
        .value_kind:     hidden_group_size_y
      - .offset:         96
        .size:           2
        .value_kind:     hidden_group_size_z
      - .offset:         98
        .size:           2
        .value_kind:     hidden_remainder_x
      - .offset:         100
        .size:           2
        .value_kind:     hidden_remainder_y
      - .offset:         102
        .size:           2
        .value_kind:     hidden_remainder_z
      - .offset:         120
        .size:           8
        .value_kind:     hidden_global_offset_x
      - .offset:         128
        .size:           8
        .value_kind:     hidden_global_offset_y
      - .offset:         136
        .size:           8
        .value_kind:     hidden_global_offset_z
      - .offset:         144
        .size:           2
        .value_kind:     hidden_grid_dims
    .group_segment_fixed_size: 0
    .kernarg_segment_align: 8
    .kernarg_segment_size: 336
    .language:       OpenCL C
    .language_version:
      - 2
      - 0
    .max_flat_workgroup_size: 256
    .name:           _ZN2at6native12_GLOBAL__N_143distribution_elementwise_grid_stride_kernelIdLi2EZNS0_9templates4cuda21uniform_and_transformIddPNS_17CUDAGeneratorImplEZZZNS4_13cauchy_kernelIS7_EEvRNS_18TensorIteratorBaseEddT_ENKUlvE_clEvENKUlvE_clEvEUldE_EEvSA_T1_T2_EUlP25hiprandStatePhilox4_32_10E_ZNS1_27distribution_nullary_kernelIdd15HIP_vector_typeIdLj2EES7_SJ_SE_EEvSA_SG_RKT3_T4_EUlidE_EEvlNS_15PhiloxCudaStateESF_SG_
    .private_segment_fixed_size: 0
    .sgpr_count:     63
    .sgpr_spill_count: 0
    .symbol:         _ZN2at6native12_GLOBAL__N_143distribution_elementwise_grid_stride_kernelIdLi2EZNS0_9templates4cuda21uniform_and_transformIddPNS_17CUDAGeneratorImplEZZZNS4_13cauchy_kernelIS7_EEvRNS_18TensorIteratorBaseEddT_ENKUlvE_clEvENKUlvE_clEvEUldE_EEvSA_T1_T2_EUlP25hiprandStatePhilox4_32_10E_ZNS1_27distribution_nullary_kernelIdd15HIP_vector_typeIdLj2EES7_SJ_SE_EEvSA_SG_RKT3_T4_EUlidE_EEvlNS_15PhiloxCudaStateESF_SG_.kd
    .uniform_work_group_size: 1
    .uses_dynamic_stack: false
    .vgpr_count:     70
    .vgpr_spill_count: 0
    .wavefront_size: 32
    .workgroup_processor_mode: 1
  - .args:
      - .offset:         0
        .size:           8
        .value_kind:     by_value
      - .offset:         8
        .size:           32
        .value_kind:     by_value
      - .offset:         40
        .size:           1
        .value_kind:     by_value
      - .offset:         48
        .size:           288
        .value_kind:     by_value
      - .offset:         336
        .size:           4
        .value_kind:     hidden_block_count_x
      - .offset:         340
        .size:           4
        .value_kind:     hidden_block_count_y
      - .offset:         344
        .size:           4
        .value_kind:     hidden_block_count_z
      - .offset:         348
        .size:           2
        .value_kind:     hidden_group_size_x
      - .offset:         350
        .size:           2
        .value_kind:     hidden_group_size_y
      - .offset:         352
        .size:           2
        .value_kind:     hidden_group_size_z
      - .offset:         354
        .size:           2
        .value_kind:     hidden_remainder_x
      - .offset:         356
        .size:           2
        .value_kind:     hidden_remainder_y
      - .offset:         358
        .size:           2
        .value_kind:     hidden_remainder_z
      - .offset:         376
        .size:           8
        .value_kind:     hidden_global_offset_x
      - .offset:         384
        .size:           8
        .value_kind:     hidden_global_offset_y
      - .offset:         392
        .size:           8
        .value_kind:     hidden_global_offset_z
      - .offset:         400
        .size:           2
        .value_kind:     hidden_grid_dims
    .group_segment_fixed_size: 0
    .kernarg_segment_align: 8
    .kernarg_segment_size: 592
    .language:       OpenCL C
    .language_version:
      - 2
      - 0
    .max_flat_workgroup_size: 256
    .name:           _ZN2at6native12_GLOBAL__N_143distribution_elementwise_grid_stride_kernelIdLi2EZNS0_9templates4cuda21uniform_and_transformIddPNS_17CUDAGeneratorImplEZZZNS4_13cauchy_kernelIS7_EEvRNS_18TensorIteratorBaseEddT_ENKUlvE_clEvENKUlvE_clEvEUldE_EEvSA_T1_T2_EUlP25hiprandStatePhilox4_32_10E_ZNS1_27distribution_nullary_kernelIdd15HIP_vector_typeIdLj2EES7_SJ_SE_EEvSA_SG_RKT3_T4_EUlidE0_EEvlNS_15PhiloxCudaStateESF_SG_
    .private_segment_fixed_size: 0
    .sgpr_count:     102
    .sgpr_spill_count: 0
    .symbol:         _ZN2at6native12_GLOBAL__N_143distribution_elementwise_grid_stride_kernelIdLi2EZNS0_9templates4cuda21uniform_and_transformIddPNS_17CUDAGeneratorImplEZZZNS4_13cauchy_kernelIS7_EEvRNS_18TensorIteratorBaseEddT_ENKUlvE_clEvENKUlvE_clEvEUldE_EEvSA_T1_T2_EUlP25hiprandStatePhilox4_32_10E_ZNS1_27distribution_nullary_kernelIdd15HIP_vector_typeIdLj2EES7_SJ_SE_EEvSA_SG_RKT3_T4_EUlidE0_EEvlNS_15PhiloxCudaStateESF_SG_.kd
    .uniform_work_group_size: 1
    .uses_dynamic_stack: false
    .vgpr_count:     68
    .vgpr_spill_count: 0
    .wavefront_size: 32
    .workgroup_processor_mode: 1
  - .args:
      - .offset:         0
        .size:           8
        .value_kind:     by_value
      - .offset:         8
        .size:           32
        .value_kind:     by_value
      - .offset:         40
        .size:           1
        .value_kind:     by_value
      - .offset:         48
        .size:           32
        .value_kind:     by_value
      - .offset:         80
        .size:           4
        .value_kind:     hidden_block_count_x
      - .offset:         84
        .size:           4
        .value_kind:     hidden_block_count_y
      - .offset:         88
        .size:           4
        .value_kind:     hidden_block_count_z
      - .offset:         92
        .size:           2
        .value_kind:     hidden_group_size_x
      - .offset:         94
        .size:           2
        .value_kind:     hidden_group_size_y
      - .offset:         96
        .size:           2
        .value_kind:     hidden_group_size_z
      - .offset:         98
        .size:           2
        .value_kind:     hidden_remainder_x
      - .offset:         100
        .size:           2
        .value_kind:     hidden_remainder_y
      - .offset:         102
        .size:           2
        .value_kind:     hidden_remainder_z
      - .offset:         120
        .size:           8
        .value_kind:     hidden_global_offset_x
      - .offset:         128
        .size:           8
        .value_kind:     hidden_global_offset_y
      - .offset:         136
        .size:           8
        .value_kind:     hidden_global_offset_z
      - .offset:         144
        .size:           2
        .value_kind:     hidden_grid_dims
    .group_segment_fixed_size: 0
    .kernarg_segment_align: 8
    .kernarg_segment_size: 336
    .language:       OpenCL C
    .language_version:
      - 2
      - 0
    .max_flat_workgroup_size: 256
    .name:           _ZN2at6native12_GLOBAL__N_143distribution_elementwise_grid_stride_kernelIdLi2EZNS0_9templates4cuda21uniform_and_transformIddPNS_17CUDAGeneratorImplEZZZNS4_13cauchy_kernelIS7_EEvRNS_18TensorIteratorBaseEddT_ENKUlvE_clEvENKUlvE_clEvEUldE_EEvSA_T1_T2_EUlP25hiprandStatePhilox4_32_10E0_ZNS1_27distribution_nullary_kernelIdd15HIP_vector_typeIfLj4EES7_SJ_SE_EEvSA_SG_RKT3_T4_EUlidE_EEvlNS_15PhiloxCudaStateESF_SG_
    .private_segment_fixed_size: 0
    .sgpr_count:     63
    .sgpr_spill_count: 0
    .symbol:         _ZN2at6native12_GLOBAL__N_143distribution_elementwise_grid_stride_kernelIdLi2EZNS0_9templates4cuda21uniform_and_transformIddPNS_17CUDAGeneratorImplEZZZNS4_13cauchy_kernelIS7_EEvRNS_18TensorIteratorBaseEddT_ENKUlvE_clEvENKUlvE_clEvEUldE_EEvSA_T1_T2_EUlP25hiprandStatePhilox4_32_10E0_ZNS1_27distribution_nullary_kernelIdd15HIP_vector_typeIfLj4EES7_SJ_SE_EEvSA_SG_RKT3_T4_EUlidE_EEvlNS_15PhiloxCudaStateESF_SG_.kd
    .uniform_work_group_size: 1
    .uses_dynamic_stack: false
    .vgpr_count:     69
    .vgpr_spill_count: 0
    .wavefront_size: 32
    .workgroup_processor_mode: 1
  - .args:
      - .offset:         0
        .size:           8
        .value_kind:     by_value
      - .offset:         8
        .size:           32
        .value_kind:     by_value
      - .offset:         40
        .size:           1
        .value_kind:     by_value
      - .offset:         48
        .size:           288
        .value_kind:     by_value
      - .offset:         336
        .size:           4
        .value_kind:     hidden_block_count_x
      - .offset:         340
        .size:           4
        .value_kind:     hidden_block_count_y
      - .offset:         344
        .size:           4
        .value_kind:     hidden_block_count_z
      - .offset:         348
        .size:           2
        .value_kind:     hidden_group_size_x
      - .offset:         350
        .size:           2
        .value_kind:     hidden_group_size_y
      - .offset:         352
        .size:           2
        .value_kind:     hidden_group_size_z
      - .offset:         354
        .size:           2
        .value_kind:     hidden_remainder_x
      - .offset:         356
        .size:           2
        .value_kind:     hidden_remainder_y
      - .offset:         358
        .size:           2
        .value_kind:     hidden_remainder_z
      - .offset:         376
        .size:           8
        .value_kind:     hidden_global_offset_x
      - .offset:         384
        .size:           8
        .value_kind:     hidden_global_offset_y
      - .offset:         392
        .size:           8
        .value_kind:     hidden_global_offset_z
      - .offset:         400
        .size:           2
        .value_kind:     hidden_grid_dims
    .group_segment_fixed_size: 0
    .kernarg_segment_align: 8
    .kernarg_segment_size: 592
    .language:       OpenCL C
    .language_version:
      - 2
      - 0
    .max_flat_workgroup_size: 256
    .name:           _ZN2at6native12_GLOBAL__N_143distribution_elementwise_grid_stride_kernelIdLi2EZNS0_9templates4cuda21uniform_and_transformIddPNS_17CUDAGeneratorImplEZZZNS4_13cauchy_kernelIS7_EEvRNS_18TensorIteratorBaseEddT_ENKUlvE_clEvENKUlvE_clEvEUldE_EEvSA_T1_T2_EUlP25hiprandStatePhilox4_32_10E0_ZNS1_27distribution_nullary_kernelIdd15HIP_vector_typeIfLj4EES7_SJ_SE_EEvSA_SG_RKT3_T4_EUlidE0_EEvlNS_15PhiloxCudaStateESF_SG_
    .private_segment_fixed_size: 0
    .sgpr_count:     102
    .sgpr_spill_count: 0
    .symbol:         _ZN2at6native12_GLOBAL__N_143distribution_elementwise_grid_stride_kernelIdLi2EZNS0_9templates4cuda21uniform_and_transformIddPNS_17CUDAGeneratorImplEZZZNS4_13cauchy_kernelIS7_EEvRNS_18TensorIteratorBaseEddT_ENKUlvE_clEvENKUlvE_clEvEUldE_EEvSA_T1_T2_EUlP25hiprandStatePhilox4_32_10E0_ZNS1_27distribution_nullary_kernelIdd15HIP_vector_typeIfLj4EES7_SJ_SE_EEvSA_SG_RKT3_T4_EUlidE0_EEvlNS_15PhiloxCudaStateESF_SG_.kd
    .uniform_work_group_size: 1
    .uses_dynamic_stack: false
    .vgpr_count:     69
    .vgpr_spill_count: 0
    .wavefront_size: 32
    .workgroup_processor_mode: 1
  - .args:
      - .offset:         0
        .size:           8
        .value_kind:     by_value
      - .offset:         8
        .size:           32
        .value_kind:     by_value
      - .offset:         40
        .size:           1
        .value_kind:     by_value
      - .offset:         48
        .size:           24
        .value_kind:     by_value
      - .offset:         72
        .size:           4
        .value_kind:     hidden_block_count_x
      - .offset:         76
        .size:           4
        .value_kind:     hidden_block_count_y
      - .offset:         80
        .size:           4
        .value_kind:     hidden_block_count_z
      - .offset:         84
        .size:           2
        .value_kind:     hidden_group_size_x
      - .offset:         86
        .size:           2
        .value_kind:     hidden_group_size_y
      - .offset:         88
        .size:           2
        .value_kind:     hidden_group_size_z
      - .offset:         90
        .size:           2
        .value_kind:     hidden_remainder_x
      - .offset:         92
        .size:           2
        .value_kind:     hidden_remainder_y
      - .offset:         94
        .size:           2
        .value_kind:     hidden_remainder_z
      - .offset:         112
        .size:           8
        .value_kind:     hidden_global_offset_x
      - .offset:         120
        .size:           8
        .value_kind:     hidden_global_offset_y
      - .offset:         128
        .size:           8
        .value_kind:     hidden_global_offset_z
      - .offset:         136
        .size:           2
        .value_kind:     hidden_grid_dims
    .group_segment_fixed_size: 0
    .kernarg_segment_align: 8
    .kernarg_segment_size: 328
    .language:       OpenCL C
    .language_version:
      - 2
      - 0
    .max_flat_workgroup_size: 256
    .name:           _ZN2at6native12_GLOBAL__N_143distribution_elementwise_grid_stride_kernelIfLi4EZNS0_9templates4cuda21uniform_and_transformIffPNS_17CUDAGeneratorImplEZZZNS4_13cauchy_kernelIS7_EEvRNS_18TensorIteratorBaseEddT_ENKUlvE_clEvENKUlvE0_clEvEUlfE_EEvSA_T1_T2_EUlP25hiprandStatePhilox4_32_10E_ZNS1_27distribution_nullary_kernelIff15HIP_vector_typeIdLj2EES7_SJ_SE_EEvSA_SG_RKT3_T4_EUlifE_EEvlNS_15PhiloxCudaStateESF_SG_
    .private_segment_fixed_size: 0
    .sgpr_count:     25
    .sgpr_spill_count: 0
    .symbol:         _ZN2at6native12_GLOBAL__N_143distribution_elementwise_grid_stride_kernelIfLi4EZNS0_9templates4cuda21uniform_and_transformIffPNS_17CUDAGeneratorImplEZZZNS4_13cauchy_kernelIS7_EEvRNS_18TensorIteratorBaseEddT_ENKUlvE_clEvENKUlvE0_clEvEUlfE_EEvSA_T1_T2_EUlP25hiprandStatePhilox4_32_10E_ZNS1_27distribution_nullary_kernelIff15HIP_vector_typeIdLj2EES7_SJ_SE_EEvSA_SG_RKT3_T4_EUlifE_EEvlNS_15PhiloxCudaStateESF_SG_.kd
    .uniform_work_group_size: 1
    .uses_dynamic_stack: false
    .vgpr_count:     49
    .vgpr_spill_count: 0
    .wavefront_size: 32
    .workgroup_processor_mode: 1
  - .args:
      - .offset:         0
        .size:           8
        .value_kind:     by_value
      - .offset:         8
        .size:           32
        .value_kind:     by_value
      - .offset:         40
        .size:           1
        .value_kind:     by_value
      - .offset:         48
        .size:           280
        .value_kind:     by_value
      - .offset:         328
        .size:           4
        .value_kind:     hidden_block_count_x
      - .offset:         332
        .size:           4
        .value_kind:     hidden_block_count_y
      - .offset:         336
        .size:           4
        .value_kind:     hidden_block_count_z
      - .offset:         340
        .size:           2
        .value_kind:     hidden_group_size_x
      - .offset:         342
        .size:           2
        .value_kind:     hidden_group_size_y
      - .offset:         344
        .size:           2
        .value_kind:     hidden_group_size_z
      - .offset:         346
        .size:           2
        .value_kind:     hidden_remainder_x
      - .offset:         348
        .size:           2
        .value_kind:     hidden_remainder_y
      - .offset:         350
        .size:           2
        .value_kind:     hidden_remainder_z
      - .offset:         368
        .size:           8
        .value_kind:     hidden_global_offset_x
      - .offset:         376
        .size:           8
        .value_kind:     hidden_global_offset_y
      - .offset:         384
        .size:           8
        .value_kind:     hidden_global_offset_z
      - .offset:         392
        .size:           2
        .value_kind:     hidden_grid_dims
    .group_segment_fixed_size: 0
    .kernarg_segment_align: 8
    .kernarg_segment_size: 584
    .language:       OpenCL C
    .language_version:
      - 2
      - 0
    .max_flat_workgroup_size: 256
    .name:           _ZN2at6native12_GLOBAL__N_143distribution_elementwise_grid_stride_kernelIfLi4EZNS0_9templates4cuda21uniform_and_transformIffPNS_17CUDAGeneratorImplEZZZNS4_13cauchy_kernelIS7_EEvRNS_18TensorIteratorBaseEddT_ENKUlvE_clEvENKUlvE0_clEvEUlfE_EEvSA_T1_T2_EUlP25hiprandStatePhilox4_32_10E_ZNS1_27distribution_nullary_kernelIff15HIP_vector_typeIdLj2EES7_SJ_SE_EEvSA_SG_RKT3_T4_EUlifE0_EEvlNS_15PhiloxCudaStateESF_SG_
    .private_segment_fixed_size: 0
    .sgpr_count:     58
    .sgpr_spill_count: 0
    .symbol:         _ZN2at6native12_GLOBAL__N_143distribution_elementwise_grid_stride_kernelIfLi4EZNS0_9templates4cuda21uniform_and_transformIffPNS_17CUDAGeneratorImplEZZZNS4_13cauchy_kernelIS7_EEvRNS_18TensorIteratorBaseEddT_ENKUlvE_clEvENKUlvE0_clEvEUlfE_EEvSA_T1_T2_EUlP25hiprandStatePhilox4_32_10E_ZNS1_27distribution_nullary_kernelIff15HIP_vector_typeIdLj2EES7_SJ_SE_EEvSA_SG_RKT3_T4_EUlifE0_EEvlNS_15PhiloxCudaStateESF_SG_.kd
    .uniform_work_group_size: 1
    .uses_dynamic_stack: false
    .vgpr_count:     48
    .vgpr_spill_count: 0
    .wavefront_size: 32
    .workgroup_processor_mode: 1
  - .args:
      - .offset:         0
        .size:           8
        .value_kind:     by_value
      - .offset:         8
        .size:           32
        .value_kind:     by_value
      - .offset:         40
        .size:           1
        .value_kind:     by_value
      - .offset:         48
        .size:           24
        .value_kind:     by_value
      - .offset:         72
        .size:           4
        .value_kind:     hidden_block_count_x
      - .offset:         76
        .size:           4
        .value_kind:     hidden_block_count_y
      - .offset:         80
        .size:           4
        .value_kind:     hidden_block_count_z
      - .offset:         84
        .size:           2
        .value_kind:     hidden_group_size_x
      - .offset:         86
        .size:           2
        .value_kind:     hidden_group_size_y
      - .offset:         88
        .size:           2
        .value_kind:     hidden_group_size_z
      - .offset:         90
        .size:           2
        .value_kind:     hidden_remainder_x
      - .offset:         92
        .size:           2
        .value_kind:     hidden_remainder_y
      - .offset:         94
        .size:           2
        .value_kind:     hidden_remainder_z
      - .offset:         112
        .size:           8
        .value_kind:     hidden_global_offset_x
      - .offset:         120
        .size:           8
        .value_kind:     hidden_global_offset_y
      - .offset:         128
        .size:           8
        .value_kind:     hidden_global_offset_z
      - .offset:         136
        .size:           2
        .value_kind:     hidden_grid_dims
    .group_segment_fixed_size: 0
    .kernarg_segment_align: 8
    .kernarg_segment_size: 328
    .language:       OpenCL C
    .language_version:
      - 2
      - 0
    .max_flat_workgroup_size: 256
    .name:           _ZN2at6native12_GLOBAL__N_143distribution_elementwise_grid_stride_kernelIfLi4EZNS0_9templates4cuda21uniform_and_transformIffPNS_17CUDAGeneratorImplEZZZNS4_13cauchy_kernelIS7_EEvRNS_18TensorIteratorBaseEddT_ENKUlvE_clEvENKUlvE0_clEvEUlfE_EEvSA_T1_T2_EUlP25hiprandStatePhilox4_32_10E0_ZNS1_27distribution_nullary_kernelIff15HIP_vector_typeIfLj4EES7_SJ_SE_EEvSA_SG_RKT3_T4_EUlifE_EEvlNS_15PhiloxCudaStateESF_SG_
    .private_segment_fixed_size: 0
    .sgpr_count:     25
    .sgpr_spill_count: 0
    .symbol:         _ZN2at6native12_GLOBAL__N_143distribution_elementwise_grid_stride_kernelIfLi4EZNS0_9templates4cuda21uniform_and_transformIffPNS_17CUDAGeneratorImplEZZZNS4_13cauchy_kernelIS7_EEvRNS_18TensorIteratorBaseEddT_ENKUlvE_clEvENKUlvE0_clEvEUlfE_EEvSA_T1_T2_EUlP25hiprandStatePhilox4_32_10E0_ZNS1_27distribution_nullary_kernelIff15HIP_vector_typeIfLj4EES7_SJ_SE_EEvSA_SG_RKT3_T4_EUlifE_EEvlNS_15PhiloxCudaStateESF_SG_.kd
    .uniform_work_group_size: 1
    .uses_dynamic_stack: false
    .vgpr_count:     52
    .vgpr_spill_count: 0
    .wavefront_size: 32
    .workgroup_processor_mode: 1
  - .args:
      - .offset:         0
        .size:           8
        .value_kind:     by_value
      - .offset:         8
        .size:           32
        .value_kind:     by_value
      - .offset:         40
        .size:           1
        .value_kind:     by_value
      - .offset:         48
        .size:           280
        .value_kind:     by_value
      - .offset:         328
        .size:           4
        .value_kind:     hidden_block_count_x
      - .offset:         332
        .size:           4
        .value_kind:     hidden_block_count_y
      - .offset:         336
        .size:           4
        .value_kind:     hidden_block_count_z
      - .offset:         340
        .size:           2
        .value_kind:     hidden_group_size_x
      - .offset:         342
        .size:           2
        .value_kind:     hidden_group_size_y
      - .offset:         344
        .size:           2
        .value_kind:     hidden_group_size_z
      - .offset:         346
        .size:           2
        .value_kind:     hidden_remainder_x
      - .offset:         348
        .size:           2
        .value_kind:     hidden_remainder_y
      - .offset:         350
        .size:           2
        .value_kind:     hidden_remainder_z
      - .offset:         368
        .size:           8
        .value_kind:     hidden_global_offset_x
      - .offset:         376
        .size:           8
        .value_kind:     hidden_global_offset_y
      - .offset:         384
        .size:           8
        .value_kind:     hidden_global_offset_z
      - .offset:         392
        .size:           2
        .value_kind:     hidden_grid_dims
    .group_segment_fixed_size: 0
    .kernarg_segment_align: 8
    .kernarg_segment_size: 584
    .language:       OpenCL C
    .language_version:
      - 2
      - 0
    .max_flat_workgroup_size: 256
    .name:           _ZN2at6native12_GLOBAL__N_143distribution_elementwise_grid_stride_kernelIfLi4EZNS0_9templates4cuda21uniform_and_transformIffPNS_17CUDAGeneratorImplEZZZNS4_13cauchy_kernelIS7_EEvRNS_18TensorIteratorBaseEddT_ENKUlvE_clEvENKUlvE0_clEvEUlfE_EEvSA_T1_T2_EUlP25hiprandStatePhilox4_32_10E0_ZNS1_27distribution_nullary_kernelIff15HIP_vector_typeIfLj4EES7_SJ_SE_EEvSA_SG_RKT3_T4_EUlifE0_EEvlNS_15PhiloxCudaStateESF_SG_
    .private_segment_fixed_size: 0
    .sgpr_count:     62
    .sgpr_spill_count: 0
    .symbol:         _ZN2at6native12_GLOBAL__N_143distribution_elementwise_grid_stride_kernelIfLi4EZNS0_9templates4cuda21uniform_and_transformIffPNS_17CUDAGeneratorImplEZZZNS4_13cauchy_kernelIS7_EEvRNS_18TensorIteratorBaseEddT_ENKUlvE_clEvENKUlvE0_clEvEUlfE_EEvSA_T1_T2_EUlP25hiprandStatePhilox4_32_10E0_ZNS1_27distribution_nullary_kernelIff15HIP_vector_typeIfLj4EES7_SJ_SE_EEvSA_SG_RKT3_T4_EUlifE0_EEvlNS_15PhiloxCudaStateESF_SG_.kd
    .uniform_work_group_size: 1
    .uses_dynamic_stack: false
    .vgpr_count:     49
    .vgpr_spill_count: 0
    .wavefront_size: 32
    .workgroup_processor_mode: 1
  - .args:
      - .offset:         0
        .size:           8
        .value_kind:     by_value
      - .offset:         8
        .size:           32
        .value_kind:     by_value
      - .offset:         40
        .size:           1
        .value_kind:     by_value
      - .offset:         48
        .size:           24
        .value_kind:     by_value
      - .offset:         72
        .size:           4
        .value_kind:     hidden_block_count_x
      - .offset:         76
        .size:           4
        .value_kind:     hidden_block_count_y
      - .offset:         80
        .size:           4
        .value_kind:     hidden_block_count_z
      - .offset:         84
        .size:           2
        .value_kind:     hidden_group_size_x
      - .offset:         86
        .size:           2
        .value_kind:     hidden_group_size_y
      - .offset:         88
        .size:           2
        .value_kind:     hidden_group_size_z
      - .offset:         90
        .size:           2
        .value_kind:     hidden_remainder_x
      - .offset:         92
        .size:           2
        .value_kind:     hidden_remainder_y
      - .offset:         94
        .size:           2
        .value_kind:     hidden_remainder_z
      - .offset:         112
        .size:           8
        .value_kind:     hidden_global_offset_x
      - .offset:         120
        .size:           8
        .value_kind:     hidden_global_offset_y
      - .offset:         128
        .size:           8
        .value_kind:     hidden_global_offset_z
      - .offset:         136
        .size:           2
        .value_kind:     hidden_grid_dims
    .group_segment_fixed_size: 0
    .kernarg_segment_align: 8
    .kernarg_segment_size: 328
    .language:       OpenCL C
    .language_version:
      - 2
      - 0
    .max_flat_workgroup_size: 256
    .name:           _ZN2at6native12_GLOBAL__N_143distribution_elementwise_grid_stride_kernelIfLi4EZNS0_9templates4cuda21uniform_and_transformIN3c104HalfEfPNS_17CUDAGeneratorImplEZZZNS4_13cauchy_kernelIS9_EEvRNS_18TensorIteratorBaseEddT_ENKUlvE_clEvENKUlvE1_clEvEUlfE_EEvSC_T1_T2_EUlP25hiprandStatePhilox4_32_10E_ZNS1_27distribution_nullary_kernelIS7_f15HIP_vector_typeIdLj2EES9_SL_SG_EEvSC_SI_RKT3_T4_EUlifE_EEvlNS_15PhiloxCudaStateESH_SI_
    .private_segment_fixed_size: 0
    .sgpr_count:     25
    .sgpr_spill_count: 0
    .symbol:         _ZN2at6native12_GLOBAL__N_143distribution_elementwise_grid_stride_kernelIfLi4EZNS0_9templates4cuda21uniform_and_transformIN3c104HalfEfPNS_17CUDAGeneratorImplEZZZNS4_13cauchy_kernelIS9_EEvRNS_18TensorIteratorBaseEddT_ENKUlvE_clEvENKUlvE1_clEvEUlfE_EEvSC_T1_T2_EUlP25hiprandStatePhilox4_32_10E_ZNS1_27distribution_nullary_kernelIS7_f15HIP_vector_typeIdLj2EES9_SL_SG_EEvSC_SI_RKT3_T4_EUlifE_EEvlNS_15PhiloxCudaStateESH_SI_.kd
    .uniform_work_group_size: 1
    .uses_dynamic_stack: false
    .vgpr_count:     49
    .vgpr_spill_count: 0
    .wavefront_size: 32
    .workgroup_processor_mode: 1
  - .args:
      - .offset:         0
        .size:           8
        .value_kind:     by_value
      - .offset:         8
        .size:           32
        .value_kind:     by_value
      - .offset:         40
        .size:           1
        .value_kind:     by_value
      - .offset:         48
        .size:           280
        .value_kind:     by_value
      - .offset:         328
        .size:           4
        .value_kind:     hidden_block_count_x
      - .offset:         332
        .size:           4
        .value_kind:     hidden_block_count_y
      - .offset:         336
        .size:           4
        .value_kind:     hidden_block_count_z
      - .offset:         340
        .size:           2
        .value_kind:     hidden_group_size_x
      - .offset:         342
        .size:           2
        .value_kind:     hidden_group_size_y
      - .offset:         344
        .size:           2
        .value_kind:     hidden_group_size_z
      - .offset:         346
        .size:           2
        .value_kind:     hidden_remainder_x
      - .offset:         348
        .size:           2
        .value_kind:     hidden_remainder_y
      - .offset:         350
        .size:           2
        .value_kind:     hidden_remainder_z
      - .offset:         368
        .size:           8
        .value_kind:     hidden_global_offset_x
      - .offset:         376
        .size:           8
        .value_kind:     hidden_global_offset_y
      - .offset:         384
        .size:           8
        .value_kind:     hidden_global_offset_z
      - .offset:         392
        .size:           2
        .value_kind:     hidden_grid_dims
    .group_segment_fixed_size: 0
    .kernarg_segment_align: 8
    .kernarg_segment_size: 584
    .language:       OpenCL C
    .language_version:
      - 2
      - 0
    .max_flat_workgroup_size: 256
    .name:           _ZN2at6native12_GLOBAL__N_143distribution_elementwise_grid_stride_kernelIfLi4EZNS0_9templates4cuda21uniform_and_transformIN3c104HalfEfPNS_17CUDAGeneratorImplEZZZNS4_13cauchy_kernelIS9_EEvRNS_18TensorIteratorBaseEddT_ENKUlvE_clEvENKUlvE1_clEvEUlfE_EEvSC_T1_T2_EUlP25hiprandStatePhilox4_32_10E_ZNS1_27distribution_nullary_kernelIS7_f15HIP_vector_typeIdLj2EES9_SL_SG_EEvSC_SI_RKT3_T4_EUlifE0_EEvlNS_15PhiloxCudaStateESH_SI_
    .private_segment_fixed_size: 0
    .sgpr_count:     58
    .sgpr_spill_count: 0
    .symbol:         _ZN2at6native12_GLOBAL__N_143distribution_elementwise_grid_stride_kernelIfLi4EZNS0_9templates4cuda21uniform_and_transformIN3c104HalfEfPNS_17CUDAGeneratorImplEZZZNS4_13cauchy_kernelIS9_EEvRNS_18TensorIteratorBaseEddT_ENKUlvE_clEvENKUlvE1_clEvEUlfE_EEvSC_T1_T2_EUlP25hiprandStatePhilox4_32_10E_ZNS1_27distribution_nullary_kernelIS7_f15HIP_vector_typeIdLj2EES9_SL_SG_EEvSC_SI_RKT3_T4_EUlifE0_EEvlNS_15PhiloxCudaStateESH_SI_.kd
    .uniform_work_group_size: 1
    .uses_dynamic_stack: false
    .vgpr_count:     48
    .vgpr_spill_count: 0
    .wavefront_size: 32
    .workgroup_processor_mode: 1
  - .args:
      - .offset:         0
        .size:           8
        .value_kind:     by_value
      - .offset:         8
        .size:           32
        .value_kind:     by_value
      - .offset:         40
        .size:           1
        .value_kind:     by_value
      - .offset:         48
        .size:           24
        .value_kind:     by_value
      - .offset:         72
        .size:           4
        .value_kind:     hidden_block_count_x
      - .offset:         76
        .size:           4
        .value_kind:     hidden_block_count_y
      - .offset:         80
        .size:           4
        .value_kind:     hidden_block_count_z
      - .offset:         84
        .size:           2
        .value_kind:     hidden_group_size_x
      - .offset:         86
        .size:           2
        .value_kind:     hidden_group_size_y
      - .offset:         88
        .size:           2
        .value_kind:     hidden_group_size_z
      - .offset:         90
        .size:           2
        .value_kind:     hidden_remainder_x
      - .offset:         92
        .size:           2
        .value_kind:     hidden_remainder_y
      - .offset:         94
        .size:           2
        .value_kind:     hidden_remainder_z
      - .offset:         112
        .size:           8
        .value_kind:     hidden_global_offset_x
      - .offset:         120
        .size:           8
        .value_kind:     hidden_global_offset_y
      - .offset:         128
        .size:           8
        .value_kind:     hidden_global_offset_z
      - .offset:         136
        .size:           2
        .value_kind:     hidden_grid_dims
    .group_segment_fixed_size: 0
    .kernarg_segment_align: 8
    .kernarg_segment_size: 328
    .language:       OpenCL C
    .language_version:
      - 2
      - 0
    .max_flat_workgroup_size: 256
    .name:           _ZN2at6native12_GLOBAL__N_143distribution_elementwise_grid_stride_kernelIfLi4EZNS0_9templates4cuda21uniform_and_transformIN3c104HalfEfPNS_17CUDAGeneratorImplEZZZNS4_13cauchy_kernelIS9_EEvRNS_18TensorIteratorBaseEddT_ENKUlvE_clEvENKUlvE1_clEvEUlfE_EEvSC_T1_T2_EUlP25hiprandStatePhilox4_32_10E0_ZNS1_27distribution_nullary_kernelIS7_f15HIP_vector_typeIfLj4EES9_SL_SG_EEvSC_SI_RKT3_T4_EUlifE_EEvlNS_15PhiloxCudaStateESH_SI_
    .private_segment_fixed_size: 0
    .sgpr_count:     25
    .sgpr_spill_count: 0
    .symbol:         _ZN2at6native12_GLOBAL__N_143distribution_elementwise_grid_stride_kernelIfLi4EZNS0_9templates4cuda21uniform_and_transformIN3c104HalfEfPNS_17CUDAGeneratorImplEZZZNS4_13cauchy_kernelIS9_EEvRNS_18TensorIteratorBaseEddT_ENKUlvE_clEvENKUlvE1_clEvEUlfE_EEvSC_T1_T2_EUlP25hiprandStatePhilox4_32_10E0_ZNS1_27distribution_nullary_kernelIS7_f15HIP_vector_typeIfLj4EES9_SL_SG_EEvSC_SI_RKT3_T4_EUlifE_EEvlNS_15PhiloxCudaStateESH_SI_.kd
    .uniform_work_group_size: 1
    .uses_dynamic_stack: false
    .vgpr_count:     52
    .vgpr_spill_count: 0
    .wavefront_size: 32
    .workgroup_processor_mode: 1
  - .args:
      - .offset:         0
        .size:           8
        .value_kind:     by_value
      - .offset:         8
        .size:           32
        .value_kind:     by_value
      - .offset:         40
        .size:           1
        .value_kind:     by_value
      - .offset:         48
        .size:           280
        .value_kind:     by_value
      - .offset:         328
        .size:           4
        .value_kind:     hidden_block_count_x
      - .offset:         332
        .size:           4
        .value_kind:     hidden_block_count_y
      - .offset:         336
        .size:           4
        .value_kind:     hidden_block_count_z
      - .offset:         340
        .size:           2
        .value_kind:     hidden_group_size_x
      - .offset:         342
        .size:           2
        .value_kind:     hidden_group_size_y
      - .offset:         344
        .size:           2
        .value_kind:     hidden_group_size_z
      - .offset:         346
        .size:           2
        .value_kind:     hidden_remainder_x
      - .offset:         348
        .size:           2
        .value_kind:     hidden_remainder_y
      - .offset:         350
        .size:           2
        .value_kind:     hidden_remainder_z
      - .offset:         368
        .size:           8
        .value_kind:     hidden_global_offset_x
      - .offset:         376
        .size:           8
        .value_kind:     hidden_global_offset_y
      - .offset:         384
        .size:           8
        .value_kind:     hidden_global_offset_z
      - .offset:         392
        .size:           2
        .value_kind:     hidden_grid_dims
    .group_segment_fixed_size: 0
    .kernarg_segment_align: 8
    .kernarg_segment_size: 584
    .language:       OpenCL C
    .language_version:
      - 2
      - 0
    .max_flat_workgroup_size: 256
    .name:           _ZN2at6native12_GLOBAL__N_143distribution_elementwise_grid_stride_kernelIfLi4EZNS0_9templates4cuda21uniform_and_transformIN3c104HalfEfPNS_17CUDAGeneratorImplEZZZNS4_13cauchy_kernelIS9_EEvRNS_18TensorIteratorBaseEddT_ENKUlvE_clEvENKUlvE1_clEvEUlfE_EEvSC_T1_T2_EUlP25hiprandStatePhilox4_32_10E0_ZNS1_27distribution_nullary_kernelIS7_f15HIP_vector_typeIfLj4EES9_SL_SG_EEvSC_SI_RKT3_T4_EUlifE0_EEvlNS_15PhiloxCudaStateESH_SI_
    .private_segment_fixed_size: 0
    .sgpr_count:     62
    .sgpr_spill_count: 0
    .symbol:         _ZN2at6native12_GLOBAL__N_143distribution_elementwise_grid_stride_kernelIfLi4EZNS0_9templates4cuda21uniform_and_transformIN3c104HalfEfPNS_17CUDAGeneratorImplEZZZNS4_13cauchy_kernelIS9_EEvRNS_18TensorIteratorBaseEddT_ENKUlvE_clEvENKUlvE1_clEvEUlfE_EEvSC_T1_T2_EUlP25hiprandStatePhilox4_32_10E0_ZNS1_27distribution_nullary_kernelIS7_f15HIP_vector_typeIfLj4EES9_SL_SG_EEvSC_SI_RKT3_T4_EUlifE0_EEvlNS_15PhiloxCudaStateESH_SI_.kd
    .uniform_work_group_size: 1
    .uses_dynamic_stack: false
    .vgpr_count:     49
    .vgpr_spill_count: 0
    .wavefront_size: 32
    .workgroup_processor_mode: 1
  - .args:
      - .offset:         0
        .size:           8
        .value_kind:     by_value
      - .offset:         8
        .size:           32
        .value_kind:     by_value
      - .offset:         40
        .size:           1
        .value_kind:     by_value
      - .offset:         48
        .size:           24
        .value_kind:     by_value
      - .offset:         72
        .size:           4
        .value_kind:     hidden_block_count_x
      - .offset:         76
        .size:           4
        .value_kind:     hidden_block_count_y
      - .offset:         80
        .size:           4
        .value_kind:     hidden_block_count_z
      - .offset:         84
        .size:           2
        .value_kind:     hidden_group_size_x
      - .offset:         86
        .size:           2
        .value_kind:     hidden_group_size_y
      - .offset:         88
        .size:           2
        .value_kind:     hidden_group_size_z
      - .offset:         90
        .size:           2
        .value_kind:     hidden_remainder_x
      - .offset:         92
        .size:           2
        .value_kind:     hidden_remainder_y
      - .offset:         94
        .size:           2
        .value_kind:     hidden_remainder_z
      - .offset:         112
        .size:           8
        .value_kind:     hidden_global_offset_x
      - .offset:         120
        .size:           8
        .value_kind:     hidden_global_offset_y
      - .offset:         128
        .size:           8
        .value_kind:     hidden_global_offset_z
      - .offset:         136
        .size:           2
        .value_kind:     hidden_grid_dims
    .group_segment_fixed_size: 0
    .kernarg_segment_align: 8
    .kernarg_segment_size: 328
    .language:       OpenCL C
    .language_version:
      - 2
      - 0
    .max_flat_workgroup_size: 256
    .name:           _ZN2at6native12_GLOBAL__N_143distribution_elementwise_grid_stride_kernelIfLi4EZNS0_9templates4cuda21uniform_and_transformIN3c108BFloat16EfPNS_17CUDAGeneratorImplEZZZNS4_13cauchy_kernelIS9_EEvRNS_18TensorIteratorBaseEddT_ENKUlvE_clEvENKUlvE2_clEvEUlfE_EEvSC_T1_T2_EUlP25hiprandStatePhilox4_32_10E_ZNS1_27distribution_nullary_kernelIS7_f15HIP_vector_typeIdLj2EES9_SL_SG_EEvSC_SI_RKT3_T4_EUlifE_EEvlNS_15PhiloxCudaStateESH_SI_
    .private_segment_fixed_size: 0
    .sgpr_count:     25
    .sgpr_spill_count: 0
    .symbol:         _ZN2at6native12_GLOBAL__N_143distribution_elementwise_grid_stride_kernelIfLi4EZNS0_9templates4cuda21uniform_and_transformIN3c108BFloat16EfPNS_17CUDAGeneratorImplEZZZNS4_13cauchy_kernelIS9_EEvRNS_18TensorIteratorBaseEddT_ENKUlvE_clEvENKUlvE2_clEvEUlfE_EEvSC_T1_T2_EUlP25hiprandStatePhilox4_32_10E_ZNS1_27distribution_nullary_kernelIS7_f15HIP_vector_typeIdLj2EES9_SL_SG_EEvSC_SI_RKT3_T4_EUlifE_EEvlNS_15PhiloxCudaStateESH_SI_.kd
    .uniform_work_group_size: 1
    .uses_dynamic_stack: false
    .vgpr_count:     49
    .vgpr_spill_count: 0
    .wavefront_size: 32
    .workgroup_processor_mode: 1
  - .args:
      - .offset:         0
        .size:           8
        .value_kind:     by_value
      - .offset:         8
        .size:           32
        .value_kind:     by_value
      - .offset:         40
        .size:           1
        .value_kind:     by_value
      - .offset:         48
        .size:           280
        .value_kind:     by_value
      - .offset:         328
        .size:           4
        .value_kind:     hidden_block_count_x
      - .offset:         332
        .size:           4
        .value_kind:     hidden_block_count_y
      - .offset:         336
        .size:           4
        .value_kind:     hidden_block_count_z
      - .offset:         340
        .size:           2
        .value_kind:     hidden_group_size_x
      - .offset:         342
        .size:           2
        .value_kind:     hidden_group_size_y
      - .offset:         344
        .size:           2
        .value_kind:     hidden_group_size_z
      - .offset:         346
        .size:           2
        .value_kind:     hidden_remainder_x
      - .offset:         348
        .size:           2
        .value_kind:     hidden_remainder_y
      - .offset:         350
        .size:           2
        .value_kind:     hidden_remainder_z
      - .offset:         368
        .size:           8
        .value_kind:     hidden_global_offset_x
      - .offset:         376
        .size:           8
        .value_kind:     hidden_global_offset_y
      - .offset:         384
        .size:           8
        .value_kind:     hidden_global_offset_z
      - .offset:         392
        .size:           2
        .value_kind:     hidden_grid_dims
    .group_segment_fixed_size: 0
    .kernarg_segment_align: 8
    .kernarg_segment_size: 584
    .language:       OpenCL C
    .language_version:
      - 2
      - 0
    .max_flat_workgroup_size: 256
    .name:           _ZN2at6native12_GLOBAL__N_143distribution_elementwise_grid_stride_kernelIfLi4EZNS0_9templates4cuda21uniform_and_transformIN3c108BFloat16EfPNS_17CUDAGeneratorImplEZZZNS4_13cauchy_kernelIS9_EEvRNS_18TensorIteratorBaseEddT_ENKUlvE_clEvENKUlvE2_clEvEUlfE_EEvSC_T1_T2_EUlP25hiprandStatePhilox4_32_10E_ZNS1_27distribution_nullary_kernelIS7_f15HIP_vector_typeIdLj2EES9_SL_SG_EEvSC_SI_RKT3_T4_EUlifE0_EEvlNS_15PhiloxCudaStateESH_SI_
    .private_segment_fixed_size: 0
    .sgpr_count:     58
    .sgpr_spill_count: 0
    .symbol:         _ZN2at6native12_GLOBAL__N_143distribution_elementwise_grid_stride_kernelIfLi4EZNS0_9templates4cuda21uniform_and_transformIN3c108BFloat16EfPNS_17CUDAGeneratorImplEZZZNS4_13cauchy_kernelIS9_EEvRNS_18TensorIteratorBaseEddT_ENKUlvE_clEvENKUlvE2_clEvEUlfE_EEvSC_T1_T2_EUlP25hiprandStatePhilox4_32_10E_ZNS1_27distribution_nullary_kernelIS7_f15HIP_vector_typeIdLj2EES9_SL_SG_EEvSC_SI_RKT3_T4_EUlifE0_EEvlNS_15PhiloxCudaStateESH_SI_.kd
    .uniform_work_group_size: 1
    .uses_dynamic_stack: false
    .vgpr_count:     48
    .vgpr_spill_count: 0
    .wavefront_size: 32
    .workgroup_processor_mode: 1
  - .args:
      - .offset:         0
        .size:           8
        .value_kind:     by_value
      - .offset:         8
        .size:           32
        .value_kind:     by_value
      - .offset:         40
        .size:           1
        .value_kind:     by_value
      - .offset:         48
        .size:           24
        .value_kind:     by_value
      - .offset:         72
        .size:           4
        .value_kind:     hidden_block_count_x
      - .offset:         76
        .size:           4
        .value_kind:     hidden_block_count_y
      - .offset:         80
        .size:           4
        .value_kind:     hidden_block_count_z
      - .offset:         84
        .size:           2
        .value_kind:     hidden_group_size_x
      - .offset:         86
        .size:           2
        .value_kind:     hidden_group_size_y
      - .offset:         88
        .size:           2
        .value_kind:     hidden_group_size_z
      - .offset:         90
        .size:           2
        .value_kind:     hidden_remainder_x
      - .offset:         92
        .size:           2
        .value_kind:     hidden_remainder_y
      - .offset:         94
        .size:           2
        .value_kind:     hidden_remainder_z
      - .offset:         112
        .size:           8
        .value_kind:     hidden_global_offset_x
      - .offset:         120
        .size:           8
        .value_kind:     hidden_global_offset_y
      - .offset:         128
        .size:           8
        .value_kind:     hidden_global_offset_z
      - .offset:         136
        .size:           2
        .value_kind:     hidden_grid_dims
    .group_segment_fixed_size: 0
    .kernarg_segment_align: 8
    .kernarg_segment_size: 328
    .language:       OpenCL C
    .language_version:
      - 2
      - 0
    .max_flat_workgroup_size: 256
    .name:           _ZN2at6native12_GLOBAL__N_143distribution_elementwise_grid_stride_kernelIfLi4EZNS0_9templates4cuda21uniform_and_transformIN3c108BFloat16EfPNS_17CUDAGeneratorImplEZZZNS4_13cauchy_kernelIS9_EEvRNS_18TensorIteratorBaseEddT_ENKUlvE_clEvENKUlvE2_clEvEUlfE_EEvSC_T1_T2_EUlP25hiprandStatePhilox4_32_10E0_ZNS1_27distribution_nullary_kernelIS7_f15HIP_vector_typeIfLj4EES9_SL_SG_EEvSC_SI_RKT3_T4_EUlifE_EEvlNS_15PhiloxCudaStateESH_SI_
    .private_segment_fixed_size: 0
    .sgpr_count:     25
    .sgpr_spill_count: 0
    .symbol:         _ZN2at6native12_GLOBAL__N_143distribution_elementwise_grid_stride_kernelIfLi4EZNS0_9templates4cuda21uniform_and_transformIN3c108BFloat16EfPNS_17CUDAGeneratorImplEZZZNS4_13cauchy_kernelIS9_EEvRNS_18TensorIteratorBaseEddT_ENKUlvE_clEvENKUlvE2_clEvEUlfE_EEvSC_T1_T2_EUlP25hiprandStatePhilox4_32_10E0_ZNS1_27distribution_nullary_kernelIS7_f15HIP_vector_typeIfLj4EES9_SL_SG_EEvSC_SI_RKT3_T4_EUlifE_EEvlNS_15PhiloxCudaStateESH_SI_.kd
    .uniform_work_group_size: 1
    .uses_dynamic_stack: false
    .vgpr_count:     52
    .vgpr_spill_count: 0
    .wavefront_size: 32
    .workgroup_processor_mode: 1
  - .args:
      - .offset:         0
        .size:           8
        .value_kind:     by_value
      - .offset:         8
        .size:           32
        .value_kind:     by_value
      - .offset:         40
        .size:           1
        .value_kind:     by_value
      - .offset:         48
        .size:           280
        .value_kind:     by_value
      - .offset:         328
        .size:           4
        .value_kind:     hidden_block_count_x
      - .offset:         332
        .size:           4
        .value_kind:     hidden_block_count_y
      - .offset:         336
        .size:           4
        .value_kind:     hidden_block_count_z
      - .offset:         340
        .size:           2
        .value_kind:     hidden_group_size_x
      - .offset:         342
        .size:           2
        .value_kind:     hidden_group_size_y
      - .offset:         344
        .size:           2
        .value_kind:     hidden_group_size_z
      - .offset:         346
        .size:           2
        .value_kind:     hidden_remainder_x
      - .offset:         348
        .size:           2
        .value_kind:     hidden_remainder_y
      - .offset:         350
        .size:           2
        .value_kind:     hidden_remainder_z
      - .offset:         368
        .size:           8
        .value_kind:     hidden_global_offset_x
      - .offset:         376
        .size:           8
        .value_kind:     hidden_global_offset_y
      - .offset:         384
        .size:           8
        .value_kind:     hidden_global_offset_z
      - .offset:         392
        .size:           2
        .value_kind:     hidden_grid_dims
    .group_segment_fixed_size: 0
    .kernarg_segment_align: 8
    .kernarg_segment_size: 584
    .language:       OpenCL C
    .language_version:
      - 2
      - 0
    .max_flat_workgroup_size: 256
    .name:           _ZN2at6native12_GLOBAL__N_143distribution_elementwise_grid_stride_kernelIfLi4EZNS0_9templates4cuda21uniform_and_transformIN3c108BFloat16EfPNS_17CUDAGeneratorImplEZZZNS4_13cauchy_kernelIS9_EEvRNS_18TensorIteratorBaseEddT_ENKUlvE_clEvENKUlvE2_clEvEUlfE_EEvSC_T1_T2_EUlP25hiprandStatePhilox4_32_10E0_ZNS1_27distribution_nullary_kernelIS7_f15HIP_vector_typeIfLj4EES9_SL_SG_EEvSC_SI_RKT3_T4_EUlifE0_EEvlNS_15PhiloxCudaStateESH_SI_
    .private_segment_fixed_size: 0
    .sgpr_count:     62
    .sgpr_spill_count: 0
    .symbol:         _ZN2at6native12_GLOBAL__N_143distribution_elementwise_grid_stride_kernelIfLi4EZNS0_9templates4cuda21uniform_and_transformIN3c108BFloat16EfPNS_17CUDAGeneratorImplEZZZNS4_13cauchy_kernelIS9_EEvRNS_18TensorIteratorBaseEddT_ENKUlvE_clEvENKUlvE2_clEvEUlfE_EEvSC_T1_T2_EUlP25hiprandStatePhilox4_32_10E0_ZNS1_27distribution_nullary_kernelIS7_f15HIP_vector_typeIfLj4EES9_SL_SG_EEvSC_SI_RKT3_T4_EUlifE0_EEvlNS_15PhiloxCudaStateESH_SI_.kd
    .uniform_work_group_size: 1
    .uses_dynamic_stack: false
    .vgpr_count:     49
    .vgpr_spill_count: 0
    .wavefront_size: 32
    .workgroup_processor_mode: 1
amdhsa.target:   amdgcn-amd-amdhsa--gfx1100
amdhsa.version:
  - 1
  - 2
...

	.end_amdgpu_metadata
